;; amdgpu-corpus repo=ROCm/rocSOLVER kind=compiled arch=gfx90a opt=O3
	.text
	.amdgcn_target "amdgcn-amd-amdhsa--gfx90a"
	.amdhsa_code_object_version 6
	.section	.text._ZN9rocsolver6v33100L10reset_infoIiiiEEvPT_T0_T1_S4_,"axG",@progbits,_ZN9rocsolver6v33100L10reset_infoIiiiEEvPT_T0_T1_S4_,comdat
	.globl	_ZN9rocsolver6v33100L10reset_infoIiiiEEvPT_T0_T1_S4_ ; -- Begin function _ZN9rocsolver6v33100L10reset_infoIiiiEEvPT_T0_T1_S4_
	.p2align	8
	.type	_ZN9rocsolver6v33100L10reset_infoIiiiEEvPT_T0_T1_S4_,@function
_ZN9rocsolver6v33100L10reset_infoIiiiEEvPT_T0_T1_S4_: ; @_ZN9rocsolver6v33100L10reset_infoIiiiEEvPT_T0_T1_S4_
; %bb.0:
	s_load_dword s7, s[4:5], 0x24
	s_load_dwordx4 s[0:3], s[4:5], 0x8
	s_waitcnt lgkmcnt(0)
	s_and_b32 s3, s7, 0xffff
	s_mul_i32 s6, s6, s3
	v_add_u32_e32 v0, s6, v0
	v_cmp_gt_i32_e32 vcc, s0, v0
	s_and_saveexec_b64 s[6:7], vcc
	s_cbranch_execz .LBB0_2
; %bb.1:
	s_load_dwordx2 s[4:5], s[4:5], 0x0
	v_ashrrev_i32_e32 v1, 31, v0
	v_lshlrev_b64 v[2:3], 2, v[0:1]
	v_mul_lo_u32 v0, v0, s2
	v_add_u32_e32 v0, s1, v0
	s_waitcnt lgkmcnt(0)
	v_mov_b32_e32 v1, s5
	v_add_co_u32_e32 v2, vcc, s4, v2
	v_addc_co_u32_e32 v3, vcc, v1, v3, vcc
	global_store_dword v[2:3], v0, off
.LBB0_2:
	s_endpgm
	.section	.rodata,"a",@progbits
	.p2align	6, 0x0
	.amdhsa_kernel _ZN9rocsolver6v33100L10reset_infoIiiiEEvPT_T0_T1_S4_
		.amdhsa_group_segment_fixed_size 0
		.amdhsa_private_segment_fixed_size 0
		.amdhsa_kernarg_size 280
		.amdhsa_user_sgpr_count 6
		.amdhsa_user_sgpr_private_segment_buffer 1
		.amdhsa_user_sgpr_dispatch_ptr 0
		.amdhsa_user_sgpr_queue_ptr 0
		.amdhsa_user_sgpr_kernarg_segment_ptr 1
		.amdhsa_user_sgpr_dispatch_id 0
		.amdhsa_user_sgpr_flat_scratch_init 0
		.amdhsa_user_sgpr_kernarg_preload_length 0
		.amdhsa_user_sgpr_kernarg_preload_offset 0
		.amdhsa_user_sgpr_private_segment_size 0
		.amdhsa_uses_dynamic_stack 0
		.amdhsa_system_sgpr_private_segment_wavefront_offset 0
		.amdhsa_system_sgpr_workgroup_id_x 1
		.amdhsa_system_sgpr_workgroup_id_y 0
		.amdhsa_system_sgpr_workgroup_id_z 0
		.amdhsa_system_sgpr_workgroup_info 0
		.amdhsa_system_vgpr_workitem_id 0
		.amdhsa_next_free_vgpr 4
		.amdhsa_next_free_sgpr 8
		.amdhsa_accum_offset 4
		.amdhsa_reserve_vcc 1
		.amdhsa_reserve_flat_scratch 0
		.amdhsa_float_round_mode_32 0
		.amdhsa_float_round_mode_16_64 0
		.amdhsa_float_denorm_mode_32 3
		.amdhsa_float_denorm_mode_16_64 3
		.amdhsa_dx10_clamp 1
		.amdhsa_ieee_mode 1
		.amdhsa_fp16_overflow 0
		.amdhsa_tg_split 0
		.amdhsa_exception_fp_ieee_invalid_op 0
		.amdhsa_exception_fp_denorm_src 0
		.amdhsa_exception_fp_ieee_div_zero 0
		.amdhsa_exception_fp_ieee_overflow 0
		.amdhsa_exception_fp_ieee_underflow 0
		.amdhsa_exception_fp_ieee_inexact 0
		.amdhsa_exception_int_div_zero 0
	.end_amdhsa_kernel
	.section	.text._ZN9rocsolver6v33100L10reset_infoIiiiEEvPT_T0_T1_S4_,"axG",@progbits,_ZN9rocsolver6v33100L10reset_infoIiiiEEvPT_T0_T1_S4_,comdat
.Lfunc_end0:
	.size	_ZN9rocsolver6v33100L10reset_infoIiiiEEvPT_T0_T1_S4_, .Lfunc_end0-_ZN9rocsolver6v33100L10reset_infoIiiiEEvPT_T0_T1_S4_
                                        ; -- End function
	.section	.AMDGPU.csdata,"",@progbits
; Kernel info:
; codeLenInByte = 108
; NumSgprs: 12
; NumVgprs: 4
; NumAgprs: 0
; TotalNumVgprs: 4
; ScratchSize: 0
; MemoryBound: 0
; FloatMode: 240
; IeeeMode: 1
; LDSByteSize: 0 bytes/workgroup (compile time only)
; SGPRBlocks: 1
; VGPRBlocks: 0
; NumSGPRsForWavesPerEU: 12
; NumVGPRsForWavesPerEU: 4
; AccumOffset: 4
; Occupancy: 8
; WaveLimiterHint : 0
; COMPUTE_PGM_RSRC2:SCRATCH_EN: 0
; COMPUTE_PGM_RSRC2:USER_SGPR: 6
; COMPUTE_PGM_RSRC2:TRAP_HANDLER: 0
; COMPUTE_PGM_RSRC2:TGID_X_EN: 1
; COMPUTE_PGM_RSRC2:TGID_Y_EN: 0
; COMPUTE_PGM_RSRC2:TGID_Z_EN: 0
; COMPUTE_PGM_RSRC2:TIDIG_COMP_CNT: 0
; COMPUTE_PGM_RSRC3_GFX90A:ACCUM_OFFSET: 0
; COMPUTE_PGM_RSRC3_GFX90A:TG_SPLIT: 0
	.section	.text._ZN9rocsolver6v33100L12stein_kernelIffPfEEviPT0_lS4_lPiS4_lS5_lS5_lT1_iilS5_lS5_S4_S5_S3_S3_,"axG",@progbits,_ZN9rocsolver6v33100L12stein_kernelIffPfEEviPT0_lS4_lPiS4_lS5_lS5_lT1_iilS5_lS5_S4_S5_S3_S3_,comdat
	.globl	_ZN9rocsolver6v33100L12stein_kernelIffPfEEviPT0_lS4_lPiS4_lS5_lS5_lT1_iilS5_lS5_S4_S5_S3_S3_ ; -- Begin function _ZN9rocsolver6v33100L12stein_kernelIffPfEEviPT0_lS4_lPiS4_lS5_lS5_lT1_iilS5_lS5_S4_S5_S3_S3_
	.p2align	8
	.type	_ZN9rocsolver6v33100L12stein_kernelIffPfEEviPT0_lS4_lPiS4_lS5_lS5_lT1_iilS5_lS5_S4_S5_S3_S3_,@function
_ZN9rocsolver6v33100L12stein_kernelIffPfEEviPT0_lS4_lPiS4_lS5_lS5_lT1_iilS5_lS5_S4_S5_S3_S3_: ; @_ZN9rocsolver6v33100L12stein_kernelIffPfEEviPT0_lS4_lPiS4_lS5_lS5_lT1_iilS5_lS5_S4_S5_S3_S3_
; %bb.0:
	s_load_dwordx16 s[8:23], s[4:5], 0x8
	s_mov_b32 s54, s7
	s_ashr_i32 s55, s7, 31
	s_lshl_b64 s[2:3], s[54:55], 2
	s_waitcnt lgkmcnt(0)
	s_add_u32 s0, s16, s2
	s_addc_u32 s1, s17, s3
	s_load_dword s48, s[0:1], 0x0
	s_waitcnt lgkmcnt(0)
	s_cmp_lt_i32 s48, 1
	s_cbranch_scc1 .LBB1_270
; %bb.1:
	s_load_dwordx8 s[36:43], s[4:5], 0x70
	s_load_dwordx4 s[44:47], s[4:5], 0x90
                                        ; implicit-def: $vgpr52 : SGPR spill to VGPR lane
	s_mov_b64 s[28:29], 0
	v_writelane_b32 v52, s2, 0
	v_writelane_b32 v52, s3, 1
	s_waitcnt lgkmcnt(0)
	s_cmp_eq_u64 s[38:39], 0
	s_cbranch_scc1 .LBB1_3
; %bb.2:
	s_mul_i32 s0, s54, s41
	s_mul_hi_u32 s1, s54, s40
	s_add_i32 s0, s1, s0
	s_mul_i32 s1, s55, s40
	s_add_i32 s1, s0, s1
	s_mul_i32 s0, s54, s40
	s_lshl_b64 s[0:1], s[0:1], 2
	s_add_u32 s28, s38, s0
	s_addc_u32 s29, s39, s1
.LBB1_3:
	v_cmp_eq_u32_e64 s[0:1], 0, v0
	s_and_saveexec_b64 s[2:3], s[0:1]
	s_cbranch_execz .LBB1_5
; %bb.4:
	v_mov_b32_e32 v1, 0
	ds_write_b32 v1, v1
.LBB1_5:
	s_or_b64 exec, exec, s[2:3]
	s_cmp_lg_u64 s[28:29], 0
	s_cselect_b64 s[6:7], -1, 0
	v_cmp_gt_u32_e32 vcc, s48, v0
	s_and_b64 s[2:3], vcc, s[6:7]
	s_and_saveexec_b64 s[16:17], s[2:3]
	s_cbranch_execz .LBB1_13
; %bb.6:
	v_or_b32_e32 v1, 0x100, v0
	v_max_i32_e32 v2, s48, v1
	v_xad_u32 v3, v0, -1, v2
	s_movk_i32 s2, 0x2ff
	v_cmp_lt_u32_e32 vcc, s2, v3
	s_mov_b64 s[2:3], -1
	v_mov_b32_e32 v2, v0
	s_and_saveexec_b64 s[26:27], vcc
	s_cbranch_execz .LBB1_10
; %bb.7:
	v_lshrrev_b32_e32 v2, 8, v3
	v_add_u32_e32 v6, 1, v2
	v_and_b32_e32 v7, 0x1fffffc, v6
	s_mov_b64 s[24:25], 0
	v_mov_b32_e32 v8, s29
	v_mov_b32_e32 v3, 0
	;; [unrolled: 1-line block ×3, first 2 shown]
	v_pk_mov_b32 v[4:5], v[0:1], v[0:1] op_sel:[0,1]
.LBB1_8:                                ; =>This Inner Loop Header: Depth=1
	v_mov_b32_e32 v2, v4
	v_lshlrev_b64 v[14:15], 2, v[2:3]
	v_add_u32_e32 v12, 0x200, v4
	v_mov_b32_e32 v13, v3
	v_add_co_u32_e64 v14, s[2:3], s28, v14
	v_lshlrev_b64 v[12:13], 2, v[12:13]
	v_addc_co_u32_e64 v15, s[2:3], v8, v15, s[2:3]
	v_add_u32_e32 v10, 0x200, v5
	v_mov_b32_e32 v11, v3
	v_add_u32_e32 v9, -4, v9
	v_mov_b32_e32 v2, v5
	v_add_co_u32_e64 v12, s[2:3], s28, v12
	v_lshlrev_b64 v[10:11], 2, v[10:11]
	v_cmp_eq_u32_e32 vcc, 0, v9
	v_lshlrev_b64 v[16:17], 2, v[2:3]
	v_addc_co_u32_e64 v13, s[2:3], v8, v13, s[2:3]
	v_add_u32_e32 v4, 0x400, v4
	v_add_u32_e32 v5, 0x400, v5
	v_add_co_u32_e64 v10, s[2:3], s28, v10
	s_or_b64 s[24:25], vcc, s[24:25]
	v_add_co_u32_e32 v16, vcc, s28, v16
	v_addc_co_u32_e64 v11, s[2:3], v8, v11, s[2:3]
	v_addc_co_u32_e32 v17, vcc, v8, v17, vcc
	flat_store_dword v[14:15], v3
	flat_store_dword v[16:17], v3
	;; [unrolled: 1-line block ×4, first 2 shown]
	s_andn2_b64 exec, exec, s[24:25]
	s_cbranch_execnz .LBB1_8
; %bb.9:
	s_or_b64 exec, exec, s[24:25]
	v_cmp_ne_u32_e32 vcc, v6, v7
	v_lshl_or_b32 v2, v7, 8, v0
	s_orn2_b64 s[2:3], vcc, exec
.LBB1_10:
	s_or_b64 exec, exec, s[26:27]
	s_and_b64 exec, exec, s[2:3]
	s_cbranch_execz .LBB1_13
; %bb.11:
	v_mov_b32_e32 v3, 0
	v_lshlrev_b64 v[4:5], 2, v[2:3]
	v_mov_b32_e32 v1, s29
	v_add_co_u32_e32 v4, vcc, s28, v4
	v_addc_co_u32_e32 v5, vcc, v1, v5, vcc
	s_mov_b64 s[24:25], 0
.LBB1_12:                               ; =>This Inner Loop Header: Depth=1
	v_add_u32_e32 v2, 0x100, v2
	flat_store_dword v[4:5], v3
	v_add_co_u32_e32 v4, vcc, 0x400, v4
	v_cmp_le_i32_e64 s[2:3], s48, v2
	s_or_b64 s[24:25], s[2:3], s[24:25]
	v_addc_co_u32_e32 v5, vcc, 0, v5, vcc
	s_andn2_b64 exec, exec, s[24:25]
	s_cbranch_execnz .LBB1_12
.LBB1_13:
	v_writelane_b32 v52, s28, 2
	v_writelane_b32 v52, s29, 3
	;; [unrolled: 1-line block ×10, first 2 shown]
	s_or_b64 exec, exec, s[16:17]
	s_load_dwordx8 s[36:43], s[4:5], 0x48
	s_mov_b32 s27, 0
	s_mov_b32 s49, s27
	v_mov_b32_e32 v3, 0
	s_waitcnt lgkmcnt(0)
	s_mul_i32 s3, s54, s37
	s_mul_hi_u32 s16, s54, s36
	s_mul_i32 s17, s55, s36
	s_add_i32 s3, s16, s3
	s_mul_i32 s2, s54, s36
	s_add_i32 s3, s3, s17
	s_lshl_b64 s[2:3], s[2:3], 2
	s_add_u32 s33, s22, s2
	s_addc_u32 s62, s23, s3
	s_lshl_b64 s[2:3], s[48:49], 2
	s_add_u32 s2, s33, s2
	s_addc_u32 s3, s62, s3
	v_writelane_b32 v52, s2, 12
	v_writelane_b32 v52, s3, 13
	s_nop 3
	global_load_dword v14, v3, s[2:3] offset:-4
	s_waitcnt vmcnt(0)
	v_cmp_gt_i32_e32 vcc, 1, v14
	s_cbranch_vccnz .LBB1_268
; %bb.14:
	s_load_dword s28, s[4:5], 0x0
	s_mul_i32 s2, s54, s11
	s_mul_hi_u32 s3, s54, s10
	s_add_i32 s2, s3, s2
	s_mul_i32 s3, s55, s10
	s_add_i32 s3, s2, s3
	s_mul_i32 s2, s54, s10
	s_waitcnt lgkmcnt(0)
	s_ashr_i32 s29, s28, 31
	s_lshl_b64 s[2:3], s[2:3], 2
	s_add_u32 s26, s8, s2
	s_addc_u32 s30, s9, s3
	s_mul_i32 s2, s54, s15
	s_mul_hi_u32 s3, s54, s14
	s_add_i32 s2, s3, s2
	s_mul_i32 s3, s55, s14
	s_add_i32 s3, s2, s3
	s_mul_i32 s2, s54, s14
	s_lshl_b64 s[2:3], s[2:3], 2
	s_add_u32 s31, s12, s2
	s_addc_u32 s34, s13, s3
	s_mul_i32 s2, s54, s21
	s_mul_hi_u32 s3, s54, s20
	s_add_i32 s2, s3, s2
	s_mul_i32 s3, s55, s20
	s_add_i32 s3, s2, s3
	s_mul_i32 s2, s54, s20
	;; [unrolled: 9-line block ×3, first 2 shown]
	s_load_dwordx2 s[36:37], s[4:5], 0x68
	s_load_dwordx2 s[52:53], s[4:5], 0xa0
	s_mul_i32 s4, s28, 5
	s_lshl_b64 s[2:3], s[2:3], 2
	s_add_u32 s35, s38, s2
	s_mul_hi_i32 s5, s4, s54
	s_mul_i32 s4, s4, s54
	s_addc_u32 s22, s39, s3
	s_lshl_b64 s[10:11], s[4:5], 2
	s_add_u32 s20, s44, s10
	s_mul_hi_i32 s3, s28, s54
	s_mul_i32 s2, s28, s54
	v_readlane_b32 s12, v52, 4
	s_addc_u32 s21, s45, s11
	s_lshl_b64 s[2:3], s[2:3], 2
	v_readlane_b32 s13, v52, 5
	s_add_u32 s60, s46, s2
	s_mul_i32 s8, s54, s13
	s_mul_hi_u32 s9, s54, s12
	s_addc_u32 s61, s47, s3
	s_add_i32 s8, s9, s8
	s_mul_i32 s9, s55, s12
	s_add_i32 s9, s8, s9
	s_mul_i32 s8, s54, s12
	s_waitcnt lgkmcnt(0)
	s_ashr_i32 s3, s36, 31
	s_lshl_b64 s[8:9], s[8:9], 2
	s_mov_b32 s2, s36
	s_add_u32 s8, s42, s8
	v_readlane_b32 s18, v52, 10
	s_addc_u32 s9, s43, s9
	s_lshl_b64 s[2:3], s[2:3], 2
	v_readlane_b32 s19, v52, 11
	s_add_u32 s36, s8, s2
	s_mul_i32 s18, s28, 3
	s_addc_u32 s49, s9, s3
	s_ashr_i32 s19, s18, 31
	s_lshl_b64 s[12:13], s[18:19], 2
	s_add_u32 s38, s20, s12
	s_addc_u32 s39, s21, s13
	s_lshl_b64 s[8:9], s[28:29], 3
	s_sub_u32 s40, s38, s8
	s_subb_u32 s41, s39, s9
	s_lshl_b64 s[2:3], s[28:29], 2
	s_add_u32 s42, s40, s2
	s_addc_u32 s43, s41, s3
	v_readlane_b32 s14, v52, 6
	s_add_u32 s46, s42, s8
	s_addc_u32 s47, s43, s9
	v_lshlrev_b32_e32 v2, 2, v0
	s_add_i32 s14, 8, 0x800
	v_readlane_b32 s15, v52, 7
	v_readlane_b32 s16, v52, 8
	;; [unrolled: 1-line block ×3, first 2 shown]
	v_max_f32_e64 v1, s52, s52
	v_add_u32_e32 v32, s14, v2
	s_mul_i32 s14, s28, -12
	v_max_f32_e32 v30, 0, v1
	s_mul_hi_i32 s16, s28, -12
	s_add_u32 s17, s46, s14
	v_div_scale_f32 v1, s[14:15], s53, s53, 1.0
	s_addc_u32 s14, s47, s16
	s_add_u32 s54, s17, 4
	s_addc_u32 s55, s14, 0
	s_and_b64 s[6:7], s[0:1], s[6:7]
	v_writelane_b32 v52, s6, 14
	v_writelane_b32 v52, s7, 15
	s_add_u32 s6, s35, -4
	v_writelane_b32 v52, s6, 16
	s_addc_u32 s6, s22, -1
	s_add_u32 s51, s26, -4
	v_writelane_b32 v52, s22, 17
	s_addc_u32 s73, s30, -1
	v_writelane_b32 v52, s6, 18
	s_add_u32 s6, s31, -8
	v_writelane_b32 v52, s6, 19
	s_addc_u32 s6, s34, -1
	v_writelane_b32 v52, s6, 20
	;; [unrolled: 4-line block ×3, first 2 shown]
	s_add_u32 s6, s31, 4
	v_rcp_f32_e32 v4, v1
	v_writelane_b32 v52, s6, 23
	s_addc_u32 s6, s34, 0
	v_writelane_b32 v52, s6, 24
	s_add_u32 s6, s26, 4
	v_writelane_b32 v52, s6, 25
	s_addc_u32 s6, s30, 0
	v_writelane_b32 v52, s6, 26
	s_add_u32 s6, s10, s12
	v_fma_f32 v5, -v1, v4, 1.0
	s_addc_u32 s7, s11, s13
	v_fmac_f32_e32 v4, v5, v4
	v_div_scale_f32 v5, vcc, 1.0, s53, 1.0
	s_add_u32 s6, s6, s44
	v_mul_f32_e32 v6, v5, v4
	s_addc_u32 s7, s7, s45
	s_lshl_b32 s63, s28, 1
	v_fma_f32 v7, -v1, v6, v5
	s_add_u32 s58, s6, 8
	v_fmac_f32_e32 v6, v7, v4
	s_addc_u32 s59, s7, 0
	v_fma_f32 v1, -v1, v6, v5
	s_add_u32 s4, s4, s18
	v_div_fmas_f32 v1, v1, v4, v6
	v_mov_b32_e32 v9, s21
	v_add_co_u32_e32 v8, vcc, s20, v2
	v_writelane_b32 v52, s18, 27
	s_addc_u32 s5, s5, s19
	v_addc_co_u32_e32 v9, vcc, 0, v9, vcc
	v_add_u32_e32 v12, s28, v0
	v_writelane_b32 v52, s19, 28
	s_lshl_b64 s[4:5], s[4:5], 2
	v_mov_b32_e32 v11, s7
	v_add_co_u32_e32 v10, vcc, s6, v2
	v_ashrrev_i32_e32 v13, 31, v12
	s_sub_u32 s4, s4, s8
	v_writelane_b32 v52, s26, 29
	v_addc_co_u32_e32 v11, vcc, 0, v11, vcc
	v_lshlrev_b64 v[12:13], 2, v[12:13]
	s_subb_u32 s5, s5, s9
	v_writelane_b32 v52, s30, 30
	v_add_u32_e32 v31, 8, v2
	v_pk_mov_b32 v[6:7], v[2:3], v[2:3] op_sel:[0,1]
	v_mov_b32_e32 v2, s21
	v_add_co_u32_e32 v12, vcc, s20, v12
	s_add_u32 s4, s4, s44
	v_writelane_b32 v52, s31, 31
	v_addc_co_u32_e32 v2, vcc, v2, v13, vcc
	s_addc_u32 s5, s5, s45
	v_writelane_b32 v52, s34, 32
	s_movk_i32 s2, 0x80
	v_div_fixup_f32 v4, v1, s53, 1.0
	v_add_co_u32_e32 v12, vcc, 4, v12
	s_add_u32 s44, s4, 8
	s_mov_b32 s64, 0xff800000
	v_writelane_b32 v52, s35, 33
	v_cmp_gt_u32_e64 s[2:3], s2, v0
	v_not_b32_e32 v33, v0
	v_or_b32_e32 v1, 0x100, v0
	v_mov_b32_e32 v5, v4
	v_addc_co_u32_e32 v13, vcc, 0, v2, vcc
	s_addc_u32 s45, s5, 0
	s_brev_b32 s23, -2
	v_mov_b32_e32 v34, 0x260
	v_mov_b32_e32 v35, 1.0
	s_mov_b32 s76, 0x5e4789c9
	s_mov_b32 s77, 0xbc8f
	s_movk_i32 s82, 0xf2b9
	s_mov_b32 s83, 0x4f7a09cd
	s_mov_b32 s56, 0x9ef4
	v_mov_b32_e32 v36, 1
	v_mov_b32_e32 v37, 8
	s_movk_i32 s57, 0xf131
	s_movk_i32 s22, 0x400
	s_mov_b32 s50, 0
	v_cmp_gt_u32_e64 s[4:5], 64, v0
	v_cmp_gt_i32_e64 s[6:7], s28, v0
	s_mov_b32 s65, 0x41dfffff
	s_mov_b32 s66, s27
	v_writelane_b32 v52, s51, 34
                                        ; implicit-def: $vgpr38
                                        ; implicit-def: $vgpr42
                                        ; implicit-def: $vgpr41
                                        ; implicit-def: $vgpr39
                                        ; implicit-def: $sgpr29
	v_writelane_b32 v52, s73, 35
	s_branch .LBB1_17
.LBB1_15:                               ;   in Loop: Header=BB1_17 Depth=1
	v_readlane_b32 s8, v52, 12
	v_readlane_b32 s9, v52, 13
	s_mov_b32 s50, s18
	v_readlane_b32 s26, v52, 29
	v_readlane_b32 s30, v52, 30
	;; [unrolled: 1-line block ×4, first 2 shown]
	global_load_dword v14, v3, s[8:9] offset:-4
	v_readlane_b32 s35, v52, 33
	v_readlane_b32 s51, v52, 34
	;; [unrolled: 1-line block ×3, first 2 shown]
.LBB1_16:                               ;   in Loop: Header=BB1_17 Depth=1
	s_add_i32 s66, s66, 1
	s_waitcnt vmcnt(0)
	v_cmp_ge_i32_e32 vcc, s66, v14
	s_cbranch_vccnz .LBB1_268
.LBB1_17:                               ; =>This Loop Header: Depth=1
                                        ;     Child Loop BB1_23 Depth 2
                                        ;     Child Loop BB1_28 Depth 2
                                        ;       Child Loop BB1_39 Depth 3
                                        ;       Child Loop BB1_42 Depth 3
	;; [unrolled: 1-line block ×5, first 2 shown]
                                        ;         Child Loop BB1_112 Depth 4
                                        ;         Child Loop BB1_118 Depth 4
	;; [unrolled: 1-line block ×5, first 2 shown]
                                        ;           Child Loop BB1_138 Depth 5
                                        ;         Child Loop BB1_156 Depth 4
                                        ;           Child Loop BB1_157 Depth 5
                                        ;           Child Loop BB1_159 Depth 5
                                        ;         Child Loop BB1_164 Depth 4
                                        ;       Child Loop BB1_205 Depth 3
                                        ;       Child Loop BB1_242 Depth 3
                                        ;       Child Loop BB1_255 Depth 3
                                        ;       Child Loop BB1_261 Depth 3
                                        ;       Child Loop BB1_266 Depth 3
	s_cmp_eq_u32 s66, 0
	s_mov_b32 s68, 0
	s_cbranch_scc1 .LBB1_19
; %bb.18:                               ;   in Loop: Header=BB1_17 Depth=1
	s_mov_b32 s67, s27
	s_lshl_b64 s[8:9], s[66:67], 2
	v_readlane_b32 s10, v52, 16
	s_add_u32 s8, s10, s8
	v_readlane_b32 s10, v52, 18
	s_addc_u32 s9, s10, s9
	global_load_dword v2, v3, s[8:9]
	s_mov_b64 s[8:9], s[66:67]
	s_waitcnt vmcnt(0)
	v_readfirstlane_b32 s68, v2
	s_branch .LBB1_20
.LBB1_19:                               ;   in Loop: Header=BB1_17 Depth=1
	s_mov_b64 s[8:9], 0
.LBB1_20:                               ;   in Loop: Header=BB1_17 Depth=1
	s_lshl_b64 s[8:9], s[8:9], 2
	s_add_u32 s8, s35, s8
	v_readlane_b32 s10, v52, 17
	s_addc_u32 s9, s10, s9
	global_load_dword v2, v3, s[8:9]
	s_not_b32 s8, s68
	s_waitcnt vmcnt(0)
	v_readfirstlane_b32 s70, v2
	s_add_i32 s72, s8, s70
	s_cmp_lt_i32 s72, 1
	s_cselect_b64 s[74:75], -1, 0
	v_subrev_u32_e32 v40, s68, v2
	s_and_b64 vcc, exec, s[74:75]
	s_cbranch_vccnz .LBB1_25
; %bb.21:                               ;   in Loop: Header=BB1_17 Depth=1
	s_ashr_i32 s69, s68, 31
	s_lshl_b64 s[8:9], s[68:69], 2
	s_add_u32 s10, s26, s8
	s_addc_u32 s11, s30, s9
	s_add_u32 s14, s31, s8
	s_addc_u32 s15, s34, s9
	s_ashr_i32 s71, s70, 31
	s_lshl_b64 s[16:17], s[70:71], 2
	s_add_u32 s18, s51, s16
	s_addc_u32 s19, s73, s17
	s_add_i32 s12, s70, -2
	v_readlane_b32 s13, v52, 19
	s_add_u32 s16, s13, s16
	v_readlane_b32 s13, v52, 20
	s_addc_u32 s17, s13, s17
	global_load_dword v15, v3, s[10:11]
	global_load_dword v2, v3, s[14:15]
	global_load_dword v17, v3, s[18:19]
	global_load_dword v19, v3, s[16:17]
	s_cmp_ge_i32 s68, s12
	s_waitcnt vmcnt(3)
	v_and_b32_e32 v16, 0x7fffffff, v15
	s_waitcnt vmcnt(2)
	v_and_b32_e32 v18, 0x7fffffff, v2
	;; [unrolled: 2-line block ×4, first 2 shown]
	v_pk_add_f32 v[16:17], v[16:17], v[18:19]
	v_cmp_lt_f32_e32 vcc, v16, v17
	v_cndmask_b32_e32 v39, v16, v17, vcc
	s_cbranch_scc1 .LBB1_24
; %bb.22:                               ;   in Loop: Header=BB1_17 Depth=1
	v_readlane_b32 s10, v52, 23
	s_add_u32 s10, s10, s8
	v_readlane_b32 s11, v52, 24
	s_addc_u32 s11, s11, s9
	v_readlane_b32 s13, v52, 25
	s_add_u32 s8, s13, s8
	v_readlane_b32 s13, v52, 26
	s_addc_u32 s9, s13, s9
	s_mov_b32 s13, s68
.LBB1_23:                               ;   Parent Loop BB1_17 Depth=1
                                        ; =>  This Inner Loop Header: Depth=2
	global_load_dword v15, v3, s[8:9]
	s_add_i32 s13, s13, 1
	s_waitcnt vmcnt(0)
	v_add_f32_e64 v15, |v2|, |v15|
	global_load_dword v2, v3, s[10:11]
	s_add_u32 s10, s10, 4
	s_addc_u32 s11, s11, 0
	s_add_u32 s8, s8, 4
	s_addc_u32 s9, s9, 0
	s_cmp_lt_i32 s13, s12
	s_waitcnt vmcnt(0)
	v_add_f32_e64 v15, v15, |v2|
	v_cmp_lt_f32_e32 vcc, v39, v15
	v_cndmask_b32_e32 v39, v39, v15, vcc
	s_cbranch_scc1 .LBB1_23
.LBB1_24:                               ;   in Loop: Header=BB1_17 Depth=1
	s_mov_b32 s10, 0x9999999a
	v_cvt_f64_u32_e32 v[16:17], v40
	s_mov_b32 s11, 0x3fb99999
	v_div_scale_f64 v[18:19], s[8:9], v[16:17], v[16:17], s[10:11]
	v_rcp_f64_e32 v[20:21], v[18:19]
	v_div_scale_f64 v[22:23], vcc, s[10:11], v[16:17], s[10:11]
	s_mov_b32 s8, 0
	v_fma_f64 v[24:25], -v[18:19], v[20:21], 1.0
	v_fmac_f64_e32 v[20:21], v[20:21], v[24:25]
	v_fma_f64 v[24:25], -v[18:19], v[20:21], 1.0
	v_fmac_f64_e32 v[20:21], v[20:21], v[24:25]
	v_mul_f64 v[24:25], v[22:23], v[20:21]
	v_fma_f64 v[18:19], -v[18:19], v[24:25], v[22:23]
	v_div_fmas_f64 v[18:19], v[18:19], v[20:21], v[24:25]
	v_div_fixup_f64 v[16:17], v[18:19], v[16:17], s[10:11]
	s_brev_b32 s9, 8
	v_cmp_gt_f64_e32 vcc, s[8:9], v[16:17]
	v_cndmask_b32_e64 v2, 0, 1, vcc
	v_lshlrev_b32_e32 v2, 8, v2
	v_ldexp_f64 v[16:17], v[16:17], v2
	v_rsq_f64_e32 v[18:19], v[16:17]
	s_and_b64 s[8:9], vcc, exec
	s_cselect_b32 s8, 0xffffff80, 0
	v_cmp_class_f64_e32 vcc, v[16:17], v34
	v_mul_f64 v[20:21], v[16:17], v[18:19]
	v_mul_f64 v[18:19], v[18:19], 0.5
	v_fma_f64 v[22:23], -v[18:19], v[20:21], 0.5
	v_fmac_f64_e32 v[20:21], v[20:21], v[22:23]
	v_fma_f64 v[24:25], -v[20:21], v[20:21], v[16:17]
	v_fmac_f64_e32 v[18:19], v[18:19], v[22:23]
	v_fmac_f64_e32 v[20:21], v[24:25], v[18:19]
	v_fma_f64 v[22:23], -v[20:21], v[20:21], v[16:17]
	v_fmac_f64_e32 v[20:21], v[22:23], v[18:19]
	v_ldexp_f64 v[18:19], v[20:21], s8
	v_cndmask_b32_e32 v17, v19, v17, vcc
	v_cndmask_b32_e32 v16, v18, v16, vcc
	v_mul_f32_e32 v41, 0x3a83126f, v39
	v_cvt_f32_f64_e32 v42, v[16:17]
	s_mov_b32 s29, s50
.LBB1_25:                               ;   in Loop: Header=BB1_17 Depth=1
	s_cmp_ge_i32 s50, s48
	s_cbranch_scc1 .LBB1_16
; %bb.26:                               ;   in Loop: Header=BB1_17 Depth=1
	s_ashr_i32 s71, s70, 31
	s_lshl_b64 s[12:13], s[70:71], 2
	s_add_u32 s12, s51, s12
	s_addc_u32 s13, s73, s13
	v_writelane_b32 v52, s12, 36
	v_writelane_b32 v52, s13, 37
	v_readlane_b32 s12, v52, 27
	v_readlane_b32 s13, v52, 28
	s_add_i32 s12, s72, s12
	s_ashr_i32 s13, s12, 31
	s_lshl_b64 s[12:13], s[12:13], 2
	s_add_u32 s78, s20, s12
	s_mov_b32 s73, s27
	s_addc_u32 s79, s21, s13
	s_lshl_b64 s[12:13], s[72:73], 2
	s_add_u32 s80, s60, s12
	v_cvt_f32_u32_e32 v2, v40
	s_addc_u32 s81, s61, s13
	s_add_i32 s67, s72, -1
	s_add_u32 s12, s38, s12
	s_addc_u32 s13, s39, s13
	v_add_u32_e32 v16, s68, v0
	v_writelane_b32 v52, s12, 38
	v_mul_f32_e32 v43, v39, v2
	v_add_u32_e32 v2, s70, v33
	v_ashrrev_i32_e32 v17, 31, v16
	v_writelane_b32 v52, s13, 39
	v_subrev_u32_e32 v2, s68, v2
	s_movk_i32 s12, 0xff
	v_lshlrev_b64 v[18:19], 2, v[16:17]
	v_lshrrev_b32_e32 v14, 8, v2
	v_cmp_lt_u32_e64 s[12:13], s12, v2
	v_mov_b32_e32 v2, s30
	v_add_co_u32_e32 v16, vcc, s26, v18
	s_cmp_lg_u32 s72, 1
	v_addc_co_u32_e32 v17, vcc, v2, v19, vcc
	s_cselect_b64 s[84:85], -1, 0
	v_mov_b32_e32 v2, s34
	v_add_co_u32_e32 v18, vcc, s31, v18
	s_ashr_i32 s69, s68, 31
	v_add_u32_e32 v15, 1, v14
	v_addc_co_u32_e32 v19, vcc, v2, v19, vcc
	s_lshl_b64 s[16:17], s[68:69], 2
	v_and_b32_e32 v44, 0x1fffffe, v15
	v_mov_b32_e32 v2, s17
	v_subrev_co_u32_e32 v20, vcc, s16, v8
	v_cmp_ge_i32_e64 s[8:9], s72, v0
	v_cmp_gt_i32_e64 s[10:11], s72, v0
	v_lshl_or_b32 v14, v44, 8, v0
	v_cmp_ne_u32_e64 s[14:15], v15, v44
	s_sub_i32 s71, s70, s68
	v_subb_co_u32_e32 v21, vcc, v9, v2, vcc
	s_mul_i32 s69, s37, s50
	s_mov_b32 s73, 0
	v_mov_b32_e32 v2, v38
	s_mov_b32 s86, s50
	s_branch .LBB1_28
.LBB1_27:                               ;   in Loop: Header=BB1_28 Depth=2
	s_or_b64 exec, exec, s[18:19]
	s_add_i32 s73, s73, 1
	s_add_i32 s86, s86, 1
	;; [unrolled: 1-line block ×3, first 2 shown]
	s_cmp_ge_i32 s86, s48
	s_cselect_b64 s[16:17], -1, 0
	s_mov_b32 s18, s50
	s_waitcnt vmcnt(0)
	v_mov_b32_e32 v2, v38
	s_barrier
	s_and_b64 vcc, exec, s[16:17]
	s_cbranch_vccnz .LBB1_15
.LBB1_28:                               ;   Parent Loop BB1_17 Depth=1
                                        ; =>  This Loop Header: Depth=2
                                        ;       Child Loop BB1_39 Depth 3
                                        ;       Child Loop BB1_42 Depth 3
	;; [unrolled: 1-line block ×5, first 2 shown]
                                        ;         Child Loop BB1_112 Depth 4
                                        ;         Child Loop BB1_118 Depth 4
	;; [unrolled: 1-line block ×5, first 2 shown]
                                        ;           Child Loop BB1_138 Depth 5
                                        ;         Child Loop BB1_156 Depth 4
                                        ;           Child Loop BB1_157 Depth 5
                                        ;           Child Loop BB1_159 Depth 5
                                        ;         Child Loop BB1_164 Depth 4
                                        ;       Child Loop BB1_205 Depth 3
                                        ;       Child Loop BB1_242 Depth 3
                                        ;       Child Loop BB1_255 Depth 3
                                        ;       Child Loop BB1_261 Depth 3
                                        ;       Child Loop BB1_266 Depth 3
	s_ashr_i32 s87, s86, 31
	s_lshl_b64 s[16:17], s[86:87], 2
	s_add_u32 s18, s33, s16
	s_addc_u32 s19, s62, s17
	global_load_dword v15, v3, s[18:19]
	s_waitcnt vmcnt(0)
	v_add_u32_e32 v15, -1, v15
	v_cmp_ne_u32_e32 vcc, s66, v15
	s_cbranch_vccnz .LBB1_33
; %bb.29:                               ;   in Loop: Header=BB1_28 Depth=2
	s_add_u32 s16, s24, s16
	s_addc_u32 s17, s25, s17
	global_load_dword v38, v3, s[16:17]
	s_and_b64 vcc, exec, s[74:75]
	s_cbranch_vccz .LBB1_34
; %bb.30:                               ;   in Loop: Header=BB1_28 Depth=2
	s_and_saveexec_b64 s[16:17], s[0:1]
	s_cbranch_execz .LBB1_32
; %bb.31:                               ;   in Loop: Header=BB1_28 Depth=2
	global_store_dword v3, v35, s[20:21]
.LBB1_32:                               ;   in Loop: Header=BB1_28 Depth=2
	s_or_b64 exec, exec, s[16:17]
	s_barrier
	s_branch .LBB1_263
.LBB1_33:                               ;   in Loop: Header=BB1_28 Depth=2
                                        ; implicit-def: $sgpr73
                                        ; implicit-def: $sgpr69
	s_mov_b32 s18, s86
	v_mov_b32_e32 v38, v2
	s_cbranch_execz .LBB1_28
	s_branch .LBB1_15
.LBB1_34:                               ;   in Loop: Header=BB1_28 Depth=2
	s_cbranch_execz .LBB1_263
; %bb.35:                               ;   in Loop: Header=BB1_28 Depth=2
	s_mul_i32 s16, s66, s48
	s_add_i32 s16, s86, s16
	v_lshl_or_b32 v22, s16, 8, v0
	v_add_u32_e32 v15, 1, v22
	s_mov_b32 s16, 0x40000001
	v_mul_hi_i32 v23, v15, s16
	v_lshrrev_b32_e32 v24, 31, v23
	v_ashrrev_i32_e32 v23, 29, v23
	v_add_u32_e32 v23, v23, v24
	v_mul_lo_u32 v23, v23, s23
	v_sub_u32_e32 v15, v15, v23
	v_max_i32_e32 v15, 1, v15
	s_mov_b32 s16, 0x7ffffffe
	v_cmp_ne_u32_e32 vcc, s16, v22
	v_mov_b32_e32 v24, v15
	s_and_saveexec_b64 s[16:17], vcc
; %bb.36:                               ;   in Loop: Header=BB1_28 Depth=2
	v_sub_u32_e32 v22, 0x7ffffffe, v22
	s_mov_b32 s18, 0x4000007d
	v_mul_hi_i32 v23, v22, s18
	v_lshrrev_b32_e32 v24, 31, v23
	v_ashrrev_i32_e32 v23, 29, v23
	v_add_u32_e32 v23, v23, v24
	s_mov_b32 s18, 0x7fffff07
	v_mul_lo_u32 v23, v23, s18
	v_sub_u32_e32 v22, v22, v23
	v_max_i32_e32 v24, 1, v22
; %bb.37:                               ;   in Loop: Header=BB1_28 Depth=2
	s_or_b64 exec, exec, s[16:17]
	s_and_saveexec_b64 s[16:17], s[8:9]
	s_cbranch_execz .LBB1_40
; %bb.38:                               ;   in Loop: Header=BB1_28 Depth=2
	s_mov_b64 s[18:19], 0
	v_pk_mov_b32 v[22:23], v[8:9], v[8:9] op_sel:[0,1]
	v_mov_b32_e32 v25, v0
.LBB1_39:                               ;   Parent Loop BB1_17 Depth=1
                                        ;     Parent Loop BB1_28 Depth=2
                                        ; =>    This Inner Loop Header: Depth=3
	v_mul_hi_i32 v26, v15, s76
	v_mul_hi_i32 v27, v24, s83
	v_lshrrev_b32_e32 v28, 31, v26
	v_ashrrev_i32_e32 v26, 14, v26
	v_lshrrev_b32_e32 v29, 31, v27
	v_ashrrev_i32_e32 v27, 14, v27
	v_add_u32_e32 v26, v26, v28
	v_add_u32_e32 v27, v27, v29
	v_mul_i32_i24_e32 v28, 0xadc8, v26
	v_mul_i32_i24_e32 v29, 0xce26, v27
	v_sub_u32_e32 v15, v15, v28
	v_sub_u32_e32 v24, v24, v29
	v_mul_lo_u32 v15, v15, s77
	v_mul_lo_u32 v24, v24, s56
	v_mad_i32_i24 v15, v26, s82, v15
	v_mad_i32_i24 v24, v27, s57, v24
	v_ashrrev_i32_e32 v26, 31, v15
	v_ashrrev_i32_e32 v27, 31, v24
	v_and_b32_e32 v26, 0x7fffffff, v26
	v_and_b32_e32 v27, 0x7fffff07, v27
	v_add_u32_e32 v15, v26, v15
	v_add_u32_e32 v24, v27, v24
	v_sub_u32_e32 v26, v15, v24
	v_ashrrev_i32_e32 v27, 31, v26
	v_and_b32_e32 v27, 0x7fffffff, v27
	v_add_u32_e32 v26, v27, v26
	v_cvt_f64_i32_e32 v[26:27], v26
	v_div_scale_f64 v[28:29], s[30:31], s[64:65], s[64:65], v[26:27]
	v_rcp_f64_e32 v[48:49], v[28:29]
	v_add_u32_e32 v25, 0x100, v25
	v_cmp_lt_i32_e32 vcc, s72, v25
	s_or_b64 s[18:19], vcc, s[18:19]
	v_fma_f64 v[50:51], -v[28:29], v[48:49], 1.0
	v_fmac_f64_e32 v[48:49], v[48:49], v[50:51]
	v_fma_f64 v[50:51], -v[28:29], v[48:49], 1.0
	v_div_scale_f64 v[46:47], vcc, v[26:27], s[64:65], v[26:27]
	v_fmac_f64_e32 v[48:49], v[48:49], v[50:51]
	v_mul_f64 v[50:51], v[46:47], v[48:49]
	v_fma_f64 v[28:29], -v[28:29], v[50:51], v[46:47]
	s_nop 0
	v_div_fmas_f64 v[28:29], v[28:29], v[48:49], v[50:51]
	v_div_fixup_f64 v[26:27], v[28:29], s[64:65], v[26:27]
	v_cvt_f32_f64_e32 v26, v[26:27]
	global_store_dword v[22:23], v26, off
	v_add_co_u32_e32 v22, vcc, 0x400, v22
	v_addc_co_u32_e32 v23, vcc, 0, v23, vcc
	s_andn2_b64 exec, exec, s[18:19]
	s_cbranch_execnz .LBB1_39
.LBB1_40:                               ;   in Loop: Header=BB1_28 Depth=2
	s_or_b64 exec, exec, s[16:17]
	s_and_saveexec_b64 s[88:89], s[10:11]
	s_cbranch_execz .LBB1_43
; %bb.41:                               ;   in Loop: Header=BB1_28 Depth=2
	s_mov_b64 s[90:91], 0
	v_pk_mov_b32 v[22:23], v[18:19], v[18:19] op_sel:[0,1]
	v_pk_mov_b32 v[24:25], v[16:17], v[16:17] op_sel:[0,1]
	;; [unrolled: 1-line block ×4, first 2 shown]
	v_mov_b32_e32 v15, v0
.LBB1_42:                               ;   Parent Loop BB1_17 Depth=1
                                        ;     Parent Loop BB1_28 Depth=2
                                        ; =>    This Inner Loop Header: Depth=3
	global_load_dword v45, v[24:25], off
	v_add_u32_e32 v46, s63, v15
	v_add_u32_e32 v15, 0x100, v15
	v_ashrrev_i32_e32 v47, 31, v46
	v_cmp_le_i32_e32 vcc, s72, v15
	v_lshlrev_b64 v[46:47], 2, v[46:47]
	v_mov_b32_e32 v48, s21
	s_or_b64 s[90:91], vcc, s[90:91]
	v_add_co_u32_e32 v46, vcc, s20, v46
	v_addc_co_u32_e32 v47, vcc, v48, v47, vcc
	s_waitcnt vmcnt(0)
	global_store_dword v[28:29], v45, off
	global_load_dword v45, v[22:23], off
	v_add_co_u32_e32 v28, vcc, s22, v28
	v_addc_co_u32_e32 v29, vcc, 0, v29, vcc
	s_waitcnt vmcnt(0)
	global_store_dword v[46:47], v45, off
	global_store_dword v[26:27], v45, off
	v_add_co_u32_e32 v26, vcc, s22, v26
	s_mov_b64 s[16:17], vcc
	v_add_co_u32_e32 v24, vcc, 0x400, v24
	s_mov_b64 s[18:19], vcc
	v_addc_co_u32_e64 v27, vcc, 0, v27, s[16:17]
	v_add_co_u32_e32 v22, vcc, 0x400, v22
	v_addc_co_u32_e64 v25, s[16:17], 0, v25, s[18:19]
	v_addc_co_u32_e32 v23, vcc, 0, v23, vcc
	s_andn2_b64 exec, exec, s[90:91]
	s_cbranch_execnz .LBB1_42
.LBB1_43:                               ;   in Loop: Header=BB1_28 Depth=2
	s_or_b64 exec, exec, s[88:89]
	s_and_saveexec_b64 s[16:17], s[0:1]
	s_cbranch_execz .LBB1_45
; %bb.44:                               ;   in Loop: Header=BB1_28 Depth=2
	v_readlane_b32 s18, v52, 36
	v_readlane_b32 s19, v52, 37
	s_nop 4
	global_load_dword v15, v3, s[18:19]
	s_waitcnt vmcnt(0)
	global_store_dword v3, v15, s[78:79]
.LBB1_45:                               ;   in Loop: Header=BB1_28 Depth=2
	s_or_b64 exec, exec, s[16:17]
	s_waitcnt vmcnt(0)
	v_mul_f32_e32 v15, s52, v38
	s_mov_b32 s16, 0x41200000
	v_mul_f32_e64 v22, |v15|, s16
	v_sub_f32_e32 v23, v38, v2
	s_cmp_eq_u32 s73, 0
	v_fma_f32 v15, |v15|, s16, v2
	v_cmp_lt_f32_e32 vcc, v23, v22
	v_cndmask_b32_e32 v15, v38, v15, vcc
	s_cselect_b64 vcc, -1, 0
	s_cmp_lg_u32 s73, 0
	s_cselect_b64 s[88:89], -1, 0
	v_cndmask_b32_e32 v38, v15, v38, vcc
	s_barrier
	s_and_saveexec_b64 s[16:17], s[0:1]
	s_cbranch_execz .LBB1_72
; %bb.46:                               ;   in Loop: Header=BB1_28 Depth=2
	global_load_dword v15, v3, s[38:39]
	s_mov_b64 s[18:19], 0
	s_mov_b32 s26, 1
	global_store_dword v3, v3, s[80:81]
	s_waitcnt vmcnt(1)
	v_sub_f32_e32 v15, v15, v38
	global_store_dword v3, v15, s[38:39]
	global_load_dword v22, v3, s[40:41] offset:4
	s_waitcnt vmcnt(0)
	v_add_f32_e64 v15, |v15|, |v22|
	s_branch .LBB1_48
.LBB1_47:                               ;   in Loop: Header=BB1_48 Depth=3
	s_add_u32 s18, s18, 4
	s_addc_u32 s19, s19, 0
	s_add_i32 s26, s26, 1
	s_cmp_eq_u32 s71, s26
	s_cbranch_scc1 .LBB1_69
.LBB1_48:                               ;   Parent Loop BB1_17 Depth=1
                                        ;     Parent Loop BB1_28 Depth=2
                                        ; =>    This Inner Loop Header: Depth=3
	s_add_i32 s30, s26, -1
	s_add_u32 s94, s38, s18
	s_addc_u32 s95, s39, s19
	global_load_dword v22, v3, s[94:95] offset:4
	s_add_u32 s92, s42, s18
	s_addc_u32 s93, s43, s19
	s_cmp_lt_i32 s30, s67
	s_cselect_b64 s[90:91], -1, 0
	s_cmp_ge_i32 s30, s67
	s_waitcnt vmcnt(0)
	v_sub_f32_e32 v24, v22, v38
	global_store_dword v3, v24, s[94:95] offset:4
	global_load_dword v25, v3, s[92:93]
	s_waitcnt vmcnt(0)
	v_add_f32_e64 v22, |v24|, |v25|
	s_cbranch_scc1 .LBB1_50
; %bb.49:                               ;   in Loop: Header=BB1_48 Depth=3
	s_add_u32 s30, s40, s18
	s_addc_u32 s31, s41, s19
	global_load_dword v23, v3, s[30:31] offset:8
	s_waitcnt vmcnt(0)
	v_add_f32_e64 v22, v22, |v23|
.LBB1_50:                               ;   in Loop: Header=BB1_48 Depth=3
	global_load_dword v27, v3, s[94:95]
	v_mov_b32_e32 v23, 0
	s_waitcnt vmcnt(0)
	v_cmp_eq_f32_e32 vcc, 0, v27
	s_cbranch_vccnz .LBB1_52
; %bb.51:                               ;   in Loop: Header=BB1_48 Depth=3
	v_and_b32_e32 v23, 0x7fffffff, v27
	v_div_scale_f32 v26, s[30:31], v15, v15, v23
	v_rcp_f32_e32 v28, v26
	v_div_scale_f32 v23, vcc, v23, v15, v23
	v_fma_f32 v29, -v26, v28, 1.0
	v_fmac_f32_e32 v28, v29, v28
	v_mul_f32_e32 v29, v23, v28
	v_fma_f32 v45, -v26, v29, v23
	v_fmac_f32_e32 v29, v45, v28
	v_fma_f32 v23, -v26, v29, v23
	v_div_fmas_f32 v23, v23, v28, v29
	v_div_fixup_f32 v23, v23, v15, |v27|
.LBB1_52:                               ;   in Loop: Header=BB1_48 Depth=3
	v_cmp_neq_f32_e32 vcc, 0, v25
	s_cbranch_vccz .LBB1_57
; %bb.53:                               ;   in Loop: Header=BB1_48 Depth=3
	v_and_b32_e32 v26, 0x7fffffff, v25
	v_div_scale_f32 v28, s[30:31], v22, v22, v26
	v_rcp_f32_e32 v29, v28
	v_div_scale_f32 v26, vcc, v26, v22, v26
	s_add_u32 s30, s60, s18
	v_fma_f32 v45, -v28, v29, 1.0
	v_fmac_f32_e32 v29, v45, v29
	v_mul_f32_e32 v45, v26, v29
	v_fma_f32 v46, -v28, v45, v26
	v_fmac_f32_e32 v45, v46, v29
	v_fma_f32 v26, -v28, v45, v26
	v_div_fmas_f32 v26, v26, v29, v45
	v_div_fixup_f32 v26, v26, v22, |v25|
	v_cmp_nle_f32_e32 vcc, v26, v23
	s_addc_u32 s31, s61, s19
	s_cbranch_vccnz .LBB1_58
; %bb.54:                               ;   in Loop: Header=BB1_48 Depth=3
	v_div_scale_f32 v28, s[34:35], v27, v27, v25
	v_rcp_f32_e32 v29, v28
	v_div_scale_f32 v45, vcc, v25, v27, v25
	s_add_u32 s34, s40, s18
	v_fma_f32 v46, -v28, v29, 1.0
	v_fmac_f32_e32 v29, v46, v29
	v_mul_f32_e32 v46, v45, v29
	v_fma_f32 v47, -v28, v46, v45
	v_fmac_f32_e32 v46, v47, v29
	v_fma_f32 v28, -v28, v46, v45
	v_div_fmas_f32 v28, v28, v29, v46
	v_div_fixup_f32 v28, v28, v27, v25
	global_store_dword v3, v28, s[92:93]
	s_addc_u32 s35, s41, s19
	global_load_dword v29, v3, s[94:95] offset:4
	global_load_dword v45, v3, s[34:35] offset:4
	s_andn2_b64 vcc, exec, s[90:91]
	global_store_dword v3, v3, s[30:31]
	s_waitcnt vmcnt(1)
	v_fma_f32 v28, -v28, v45, v29
	global_store_dword v3, v28, s[94:95] offset:4
	s_cbranch_vccnz .LBB1_56
; %bb.55:                               ;   in Loop: Header=BB1_48 Depth=3
	s_add_u32 s34, s46, s18
	s_addc_u32 s35, s47, s19
	global_store_dword v3, v3, s[34:35]
.LBB1_56:                               ;   in Loop: Header=BB1_48 Depth=3
	v_mov_b32_e32 v28, v22
	s_cbranch_execz .LBB1_59
	s_branch .LBB1_62
.LBB1_57:                               ;   in Loop: Header=BB1_48 Depth=3
                                        ; implicit-def: $vgpr26
                                        ; implicit-def: $vgpr15
	s_branch .LBB1_63
.LBB1_58:                               ;   in Loop: Header=BB1_48 Depth=3
	v_mov_b32_e32 v28, v22
.LBB1_59:                               ;   in Loop: Header=BB1_48 Depth=3
	s_add_u32 s34, s40, s18
	global_store_dword v3, v25, s[94:95]
	s_addc_u32 s35, s41, s19
	global_load_dword v28, v3, s[34:35] offset:4
	v_div_scale_f32 v46, vcc, v27, v25, v27
	global_store_dword v3, v36, s[30:31]
	v_div_scale_f32 v29, s[30:31], v25, v25, v27
	v_rcp_f32_e32 v45, v29
	v_fma_f32 v47, -v29, v45, 1.0
	v_fmac_f32_e32 v45, v47, v45
	v_mul_f32_e32 v47, v46, v45
	v_fma_f32 v48, -v29, v47, v46
	v_fmac_f32_e32 v47, v48, v45
	v_fma_f32 v29, -v29, v47, v46
	v_div_fmas_f32 v29, v29, v45, v47
	v_div_fixup_f32 v25, v29, v25, v27
	s_andn2_b64 vcc, exec, s[90:91]
	s_waitcnt vmcnt(1)
	v_fma_f32 v27, -v24, v25, v28
	global_store_dword v3, v27, s[94:95] offset:4
	s_cbranch_vccnz .LBB1_61
; %bb.60:                               ;   in Loop: Header=BB1_48 Depth=3
	global_load_dword v27, v3, s[34:35] offset:8
	s_add_u32 s30, s46, s18
	s_addc_u32 s31, s47, s19
	s_waitcnt vmcnt(0)
	global_store_dword v3, v27, s[30:31]
	v_mul_f32_e64 v27, v27, -v25
	global_store_dword v3, v27, s[34:35] offset:8
.LBB1_61:                               ;   in Loop: Header=BB1_48 Depth=3
	v_mov_b32_e32 v28, v15
	global_store_dword v3, v24, s[34:35] offset:4
	global_store_dword v3, v25, s[92:93]
.LBB1_62:                               ;   in Loop: Header=BB1_48 Depth=3
	v_mov_b32_e32 v15, v28
	s_cbranch_execnz .LBB1_66
.LBB1_63:                               ;   in Loop: Header=BB1_48 Depth=3
	s_add_u32 s30, s60, s18
	s_addc_u32 s31, s61, s19
	s_andn2_b64 vcc, exec, s[90:91]
	global_store_dword v3, v3, s[30:31]
	s_cbranch_vccnz .LBB1_65
; %bb.64:                               ;   in Loop: Header=BB1_48 Depth=3
	s_add_u32 s30, s46, s18
	s_addc_u32 s31, s47, s19
	global_store_dword v3, v3, s[30:31]
.LBB1_65:                               ;   in Loop: Header=BB1_48 Depth=3
	v_mov_b32_e32 v26, 0
	v_mov_b32_e32 v15, v22
.LBB1_66:                               ;   in Loop: Header=BB1_48 Depth=3
	v_max_f32_e32 v22, v26, v26
	v_max_f32_e32 v23, v23, v23
	;; [unrolled: 1-line block ×3, first 2 shown]
	v_cmp_nle_f32_e32 vcc, v22, v30
	s_cbranch_vccnz .LBB1_47
; %bb.67:                               ;   in Loop: Header=BB1_48 Depth=3
	global_load_dword v22, v3, s[80:81]
	s_waitcnt vmcnt(0)
	v_cmp_ne_u32_e32 vcc, 0, v22
	s_cbranch_vccnz .LBB1_47
; %bb.68:                               ;   in Loop: Header=BB1_48 Depth=3
	v_mov_b32_e32 v22, s26
	global_store_dword v3, v22, s[80:81]
	s_branch .LBB1_47
.LBB1_69:                               ;   in Loop: Header=BB1_28 Depth=2
	v_readlane_b32 s18, v52, 38
	v_readlane_b32 s19, v52, 39
	v_mul_f32_e32 v15, v30, v15
	s_nop 3
	global_load_dword v22, v3, s[18:19]
	s_waitcnt vmcnt(0)
	v_cmp_le_f32_e64 s[18:19], |v22|, v15
	s_and_b64 vcc, exec, s[18:19]
	s_cbranch_vccz .LBB1_72
; %bb.70:                               ;   in Loop: Header=BB1_28 Depth=2
	global_load_dword v15, v3, s[80:81]
	s_waitcnt vmcnt(0)
	v_cmp_ne_u32_e32 vcc, 0, v15
	s_cbranch_vccnz .LBB1_72
; %bb.71:                               ;   in Loop: Header=BB1_28 Depth=2
	global_store_dword v3, v40, s[80:81]
.LBB1_72:                               ;   in Loop: Header=BB1_28 Depth=2
	s_or_b64 exec, exec, s[16:17]
	v_sub_f32_e32 v2, v38, v2
	v_cmp_gt_f32_e64 s[90:91], |v2|, v41
	s_mov_b32 s87, 0
	s_mov_b32 s51, 0
	v_bfrev_b32_e32 v15, -2
	v_mov_b32_e32 v2, 0
	s_and_saveexec_b64 s[30:31], s[8:9]
	s_cbranch_execz .LBB1_76
.LBB1_73:                               ;   in Loop: Header=BB1_28 Depth=2
	s_mov_b64 s[92:93], 0
	v_bfrev_b32_e32 v15, -2
	v_mov_b32_e32 v2, 0
	v_pk_mov_b32 v[22:23], v[8:9], v[8:9] op_sel:[0,1]
	v_mov_b32_e32 v24, v0
.LBB1_74:                               ;   Parent Loop BB1_17 Depth=1
                                        ;     Parent Loop BB1_28 Depth=2
                                        ; =>    This Inner Loop Header: Depth=3
	global_load_dword v25, v[22:23], off
	v_add_co_u32_e32 v22, vcc, 0x400, v22
	v_cmp_eq_u32_e64 s[16:17], s23, v15
	v_add_u32_e32 v26, 1, v24
	v_add_u32_e32 v24, 0x100, v24
	v_addc_co_u32_e32 v23, vcc, 0, v23, vcc
	v_cmp_lt_i32_e64 s[18:19], s72, v24
	s_waitcnt vmcnt(0)
	v_cmp_lt_f32_e64 s[34:35], v2, |v25|
	s_or_b64 vcc, s[34:35], s[16:17]
	v_cndmask_b32_e64 v2, v2, |v25|, vcc
	s_or_b64 s[92:93], s[18:19], s[92:93]
	v_cndmask_b32_e32 v15, v15, v26, vcc
	s_andn2_b64 exec, exec, s[92:93]
	s_cbranch_execnz .LBB1_74
; %bb.75:                               ;   in Loop: Header=BB1_28 Depth=2
	s_or_b64 exec, exec, s[92:93]
.LBB1_76:                               ;   Parent Loop BB1_17 Depth=1
                                        ;     Parent Loop BB1_28 Depth=2
                                        ; =>    This Loop Header: Depth=3
                                        ;         Child Loop BB1_112 Depth 4
                                        ;         Child Loop BB1_118 Depth 4
	;; [unrolled: 1-line block ×5, first 2 shown]
                                        ;           Child Loop BB1_138 Depth 5
                                        ;         Child Loop BB1_156 Depth 4
                                        ;           Child Loop BB1_157 Depth 5
                                        ;           Child Loop BB1_159 Depth 5
                                        ;         Child Loop BB1_164 Depth 4
	s_or_b64 exec, exec, s[30:31]
	ds_write2st64_b32 v31, v2, v15 offset1:8
	s_waitcnt lgkmcnt(0)
	s_barrier
	s_and_saveexec_b64 s[18:19], s[2:3]
	s_cbranch_execz .LBB1_82
; %bb.77:                               ;   in Loop: Header=BB1_76 Depth=3
	ds_read_b32 v22, v31 offset:512
	ds_read_b32 v23, v32 offset:512
	s_waitcnt lgkmcnt(1)
	v_cmp_lt_f32_e64 s[30:31], v2, v22
	v_cmp_nlt_f32_e32 vcc, v2, v22
	s_and_saveexec_b64 s[34:35], vcc
	s_cbranch_execz .LBB1_79
; %bb.78:                               ;   in Loop: Header=BB1_76 Depth=3
	v_cmp_eq_f32_e32 vcc, v2, v22
	s_waitcnt lgkmcnt(0)
	v_cmp_gt_i32_e64 s[16:17], v15, v23
	s_and_b64 s[16:17], vcc, s[16:17]
	s_andn2_b64 s[30:31], s[30:31], exec
	s_and_b64 s[16:17], s[16:17], exec
	s_or_b64 s[30:31], s[30:31], s[16:17]
.LBB1_79:                               ;   in Loop: Header=BB1_76 Depth=3
	s_or_b64 exec, exec, s[34:35]
	s_and_saveexec_b64 s[16:17], s[30:31]
	s_cbranch_execz .LBB1_81
; %bb.80:                               ;   in Loop: Header=BB1_76 Depth=3
	s_waitcnt lgkmcnt(0)
	v_mov_b32_e32 v15, v23
	v_mov_b32_e32 v2, v22
	ds_write2st64_b32 v31, v22, v23 offset1:8
.LBB1_81:                               ;   in Loop: Header=BB1_76 Depth=3
	s_or_b64 exec, exec, s[16:17]
.LBB1_82:                               ;   in Loop: Header=BB1_76 Depth=3
	s_or_b64 exec, exec, s[18:19]
	s_waitcnt lgkmcnt(0)
	s_barrier
	s_and_saveexec_b64 s[92:93], s[4:5]
	s_cbranch_execz .LBB1_109
; %bb.83:                               ;   in Loop: Header=BB1_76 Depth=3
	ds_read_b32 v22, v31 offset:256
	ds_read_b32 v23, v32 offset:256
	s_waitcnt lgkmcnt(1)
	v_cmp_lt_f32_e64 s[18:19], v2, v22
	v_cmp_nlt_f32_e32 vcc, v2, v22
	s_and_saveexec_b64 s[30:31], vcc
	s_cbranch_execz .LBB1_85
; %bb.84:                               ;   in Loop: Header=BB1_76 Depth=3
	v_cmp_eq_f32_e32 vcc, v2, v22
	s_waitcnt lgkmcnt(0)
	v_cmp_gt_i32_e64 s[16:17], v15, v23
	s_and_b64 s[16:17], vcc, s[16:17]
	s_andn2_b64 s[18:19], s[18:19], exec
	s_and_b64 s[16:17], s[16:17], exec
	s_or_b64 s[18:19], s[18:19], s[16:17]
.LBB1_85:                               ;   in Loop: Header=BB1_76 Depth=3
	s_or_b64 exec, exec, s[30:31]
	s_and_saveexec_b64 s[16:17], s[18:19]
	s_cbranch_execz .LBB1_87
; %bb.86:                               ;   in Loop: Header=BB1_76 Depth=3
	v_mov_b32_e32 v2, v22
	s_waitcnt lgkmcnt(0)
	v_mov_b32_e32 v15, v23
	ds_write2st64_b32 v31, v22, v23 offset1:8
.LBB1_87:                               ;   in Loop: Header=BB1_76 Depth=3
	s_or_b64 exec, exec, s[16:17]
	ds_read_b32 v22, v31 offset:128
	s_waitcnt lgkmcnt(1)
	ds_read_b32 v23, v32 offset:128
	s_waitcnt lgkmcnt(1)
	v_cmp_lt_f32_e64 s[18:19], v2, v22
	v_cmp_nlt_f32_e32 vcc, v2, v22
	s_and_saveexec_b64 s[30:31], vcc
	s_cbranch_execz .LBB1_89
; %bb.88:                               ;   in Loop: Header=BB1_76 Depth=3
	v_cmp_eq_f32_e32 vcc, v2, v22
	s_waitcnt lgkmcnt(0)
	v_cmp_gt_i32_e64 s[16:17], v15, v23
	s_and_b64 s[16:17], vcc, s[16:17]
	s_andn2_b64 s[18:19], s[18:19], exec
	s_and_b64 s[16:17], s[16:17], exec
	s_or_b64 s[18:19], s[18:19], s[16:17]
.LBB1_89:                               ;   in Loop: Header=BB1_76 Depth=3
	s_or_b64 exec, exec, s[30:31]
	s_and_saveexec_b64 s[16:17], s[18:19]
	s_cbranch_execz .LBB1_91
; %bb.90:                               ;   in Loop: Header=BB1_76 Depth=3
	v_mov_b32_e32 v2, v22
	s_waitcnt lgkmcnt(0)
	v_mov_b32_e32 v15, v23
	ds_write2st64_b32 v31, v22, v23 offset1:8
.LBB1_91:                               ;   in Loop: Header=BB1_76 Depth=3
	s_or_b64 exec, exec, s[16:17]
	ds_read_b32 v22, v31 offset:64
	s_waitcnt lgkmcnt(1)
	;; [unrolled: 27-line block ×4, first 2 shown]
	ds_read_b32 v23, v32 offset:16
	s_waitcnt lgkmcnt(1)
	v_cmp_lt_f32_e64 s[18:19], v2, v22
	v_cmp_nlt_f32_e32 vcc, v2, v22
	s_and_saveexec_b64 s[30:31], vcc
	s_cbranch_execz .LBB1_101
; %bb.100:                              ;   in Loop: Header=BB1_76 Depth=3
	v_cmp_eq_f32_e32 vcc, v2, v22
	s_waitcnt lgkmcnt(0)
	v_cmp_gt_i32_e64 s[16:17], v15, v23
	s_and_b64 s[16:17], vcc, s[16:17]
	s_andn2_b64 s[18:19], s[18:19], exec
	s_and_b64 s[16:17], s[16:17], exec
	s_or_b64 s[18:19], s[18:19], s[16:17]
.LBB1_101:                              ;   in Loop: Header=BB1_76 Depth=3
	s_or_b64 exec, exec, s[30:31]
	s_and_saveexec_b64 s[16:17], s[18:19]
	s_cbranch_execz .LBB1_103
; %bb.102:                              ;   in Loop: Header=BB1_76 Depth=3
	v_mov_b32_e32 v2, v22
	s_waitcnt lgkmcnt(0)
	v_mov_b32_e32 v15, v23
	ds_write2st64_b32 v31, v22, v23 offset1:8
.LBB1_103:                              ;   in Loop: Header=BB1_76 Depth=3
	s_or_b64 exec, exec, s[16:17]
	ds_read_b32 v22, v31 offset:8
	s_waitcnt lgkmcnt(1)
	ds_read_b32 v23, v32 offset:8
	s_waitcnt lgkmcnt(1)
	v_cmp_lt_f32_e64 s[18:19], v2, v22
	v_cmp_nlt_f32_e32 vcc, v2, v22
	s_and_saveexec_b64 s[30:31], vcc
	s_cbranch_execz .LBB1_105
; %bb.104:                              ;   in Loop: Header=BB1_76 Depth=3
	v_cmp_eq_f32_e32 vcc, v2, v22
	s_waitcnt lgkmcnt(0)
	v_cmp_gt_i32_e64 s[16:17], v15, v23
	s_and_b64 s[16:17], vcc, s[16:17]
	s_andn2_b64 s[18:19], s[18:19], exec
	s_and_b64 s[16:17], s[16:17], exec
	s_or_b64 s[18:19], s[18:19], s[16:17]
.LBB1_105:                              ;   in Loop: Header=BB1_76 Depth=3
	s_or_b64 exec, exec, s[30:31]
	s_and_saveexec_b64 s[16:17], s[18:19]
	s_cbranch_execz .LBB1_107
; %bb.106:                              ;   in Loop: Header=BB1_76 Depth=3
	v_mov_b32_e32 v2, v22
	s_waitcnt lgkmcnt(0)
	v_mov_b32_e32 v15, v23
	ds_write2st64_b32 v31, v22, v23 offset1:8
.LBB1_107:                              ;   in Loop: Header=BB1_76 Depth=3
	s_or_b64 exec, exec, s[16:17]
	ds_read_b32 v22, v31 offset:4
	s_waitcnt lgkmcnt(1)
	ds_read_b32 v23, v32 offset:4
	s_waitcnt lgkmcnt(1)
	v_cmp_eq_f32_e64 s[16:17], v2, v22
	s_waitcnt lgkmcnt(0)
	v_cmp_gt_i32_e64 s[18:19], v15, v23
	v_cmp_lt_f32_e32 vcc, v2, v22
	s_and_b64 s[16:17], s[16:17], s[18:19]
	s_or_b64 s[16:17], vcc, s[16:17]
	s_and_b64 exec, exec, s[16:17]
	s_cbranch_execz .LBB1_109
; %bb.108:                              ;   in Loop: Header=BB1_76 Depth=3
	ds_write2st64_b32 v31, v22, v23 offset1:8
.LBB1_109:                              ;   in Loop: Header=BB1_76 Depth=3
	s_or_b64 exec, exec, s[92:93]
	s_waitcnt lgkmcnt(0)
	s_barrier
	s_and_saveexec_b64 s[16:17], s[8:9]
	s_cbranch_execz .LBB1_119
; %bb.110:                              ;   in Loop: Header=BB1_76 Depth=3
	global_load_dword v2, v3, s[78:79]
	ds_read_b32 v22, v37
	v_mov_b32_e32 v15, s52
	s_mov_b64 s[30:31], -1
	s_waitcnt vmcnt(0)
	v_cmp_gt_f32_e64 s[18:19], |v2|, s52
	v_cndmask_b32_e64 v2, v15, |v2|, s[18:19]
	v_mul_f32_e32 v15, v43, v2
	s_waitcnt lgkmcnt(0)
	v_div_scale_f32 v23, s[18:19], v22, v22, v15
	v_rcp_f32_e32 v24, v23
	v_div_scale_f32 v25, vcc, v15, v22, v15
	v_mov_b32_e32 v2, v0
	v_fma_f32 v26, -v23, v24, 1.0
	v_fmac_f32_e32 v24, v26, v24
	v_mul_f32_e32 v26, v25, v24
	v_fma_f32 v27, -v23, v26, v25
	v_fmac_f32_e32 v26, v27, v24
	v_fma_f32 v23, -v23, v26, v25
	v_div_fmas_f32 v23, v23, v24, v26
	v_div_fixup_f32 v22, v23, v22, v15
	v_pk_mov_b32 v[24:25], v[6:7], v[6:7] op_sel:[0,1]
	s_and_saveexec_b64 s[18:19], s[12:13]
	s_cbranch_execz .LBB1_116
; %bb.111:                              ;   in Loop: Header=BB1_76 Depth=3
	v_mov_b32_e32 v23, v22
	s_mov_b64 s[30:31], 0
	v_mov_b32_e32 v15, v44
	v_pk_mov_b32 v[24:25], v[0:1], v[0:1] op_sel:[0,1]
.LBB1_112:                              ;   Parent Loop BB1_17 Depth=1
                                        ;     Parent Loop BB1_28 Depth=2
                                        ;       Parent Loop BB1_76 Depth=3
                                        ; =>      This Inner Loop Header: Depth=4
	v_mov_b32_e32 v2, v24
	v_lshlrev_b64 v[26:27], 2, v[2:3]
	v_mov_b32_e32 v45, s21
	v_mov_b32_e32 v2, v25
	v_add_co_u32_e32 v26, vcc, s20, v26
	v_lshlrev_b64 v[28:29], 2, v[2:3]
	v_addc_co_u32_e32 v27, vcc, v45, v27, vcc
	v_add_co_u32_e32 v28, vcc, s20, v28
	v_addc_co_u32_e32 v29, vcc, v45, v29, vcc
	global_load_dword v46, v[26:27], off
	global_load_dword v47, v[28:29], off
	v_add_u32_e32 v15, -2, v15
	v_cmp_eq_u32_e32 vcc, 0, v15
	v_add_u32_e32 v24, 0x200, v24
	v_add_u32_e32 v25, 0x200, v25
	s_or_b64 s[30:31], vcc, s[30:31]
	s_waitcnt vmcnt(0)
	v_pk_mul_f32 v[46:47], v[22:23], v[46:47]
	global_store_dword v[26:27], v46, off
	global_store_dword v[28:29], v47, off
	s_andn2_b64 exec, exec, s[30:31]
	s_cbranch_execnz .LBB1_112
; %bb.113:                              ;   in Loop: Header=BB1_76 Depth=3
	s_or_b64 exec, exec, s[30:31]
	s_mov_b64 s[30:31], 0
                                        ; implicit-def: $vgpr24_vgpr25
	s_and_saveexec_b64 s[34:35], s[14:15]
; %bb.114:                              ;   in Loop: Header=BB1_76 Depth=3
	v_mov_b32_e32 v15, v3
	s_mov_b64 s[30:31], exec
	v_lshlrev_b64 v[24:25], 2, v[14:15]
; %bb.115:                              ;   in Loop: Header=BB1_76 Depth=3
	s_or_b64 exec, exec, s[34:35]
	s_orn2_b64 s[30:31], s[30:31], exec
	v_mov_b32_e32 v2, v14
.LBB1_116:                              ;   in Loop: Header=BB1_76 Depth=3
	s_or_b64 exec, exec, s[18:19]
	s_and_b64 exec, exec, s[30:31]
	s_cbranch_execz .LBB1_119
; %bb.117:                              ;   in Loop: Header=BB1_76 Depth=3
	v_mov_b32_e32 v15, s21
	v_add_co_u32_e32 v24, vcc, s20, v24
	v_addc_co_u32_e32 v25, vcc, v15, v25, vcc
	s_mov_b64 s[18:19], 0
.LBB1_118:                              ;   Parent Loop BB1_17 Depth=1
                                        ;     Parent Loop BB1_28 Depth=2
                                        ;       Parent Loop BB1_76 Depth=3
                                        ; =>      This Inner Loop Header: Depth=4
	global_load_dword v15, v[24:25], off
	v_add_u32_e32 v2, 0x100, v2
	v_cmp_lt_i32_e32 vcc, s72, v2
	s_or_b64 s[18:19], vcc, s[18:19]
	s_waitcnt vmcnt(0)
	v_mul_f32_e32 v15, v22, v15
	global_store_dword v[24:25], v15, off
	v_add_co_u32_e32 v24, vcc, 0x400, v24
	v_addc_co_u32_e32 v25, vcc, 0, v25, vcc
	s_andn2_b64 exec, exec, s[18:19]
	s_cbranch_execnz .LBB1_118
.LBB1_119:                              ;   in Loop: Header=BB1_76 Depth=3
	s_or_b64 exec, exec, s[16:17]
	s_barrier
	s_and_saveexec_b64 s[18:19], s[0:1]
	s_cbranch_execz .LBB1_152
; %bb.120:                              ;   in Loop: Header=BB1_76 Depth=3
	global_load_dwordx2 v[22:23], v3, s[38:39]
	global_load_dword v2, v3, s[54:55]
	s_mov_b64 s[16:17], s[44:45]
	s_mov_b64 s[30:31], s[58:59]
	;; [unrolled: 1-line block ×3, first 2 shown]
	s_andn2_b64 vcc, exec, s[84:85]
	s_mov_b32 s26, s67
	s_waitcnt vmcnt(0)
	v_max3_f32 v2, |v22|, |v23|, |v2|
	s_cbranch_vccnz .LBB1_122
.LBB1_121:                              ;   Parent Loop BB1_17 Depth=1
                                        ;     Parent Loop BB1_28 Depth=2
                                        ;       Parent Loop BB1_76 Depth=3
                                        ; =>      This Inner Loop Header: Depth=4
	global_load_dword v15, v3, s[92:93]
	global_load_dword v22, v3, s[16:17]
	;; [unrolled: 1-line block ×3, first 2 shown]
	s_add_i32 s26, s26, -1
	s_add_u32 s92, s92, 4
	s_addc_u32 s93, s93, 0
	s_add_u32 s30, s30, 4
	s_addc_u32 s31, s31, 0
	;; [unrolled: 2-line block ×3, first 2 shown]
	s_cmp_lg_u32 s26, 0
	s_waitcnt vmcnt(2)
	v_max_f32_e64 v15, |v15|, |v15|
	s_waitcnt vmcnt(1)
	v_max_f32_e64 v22, |v22|, |v22|
	v_max_f32_e32 v15, v22, v15
	s_waitcnt vmcnt(0)
	v_max3_f32 v2, v2, |v23|, v15
	s_cbranch_scc1 .LBB1_121
.LBB1_122:                              ;   in Loop: Header=BB1_76 Depth=3
	s_mov_b32 s26, 1
	s_mov_b64 s[16:17], 0
	s_mov_b32 s92, s72
	s_branch .LBB1_124
.LBB1_123:                              ;   in Loop: Header=BB1_124 Depth=4
	s_add_u32 s34, s34, s16
	s_addc_u32 s35, s35, s17
	global_load_dword v15, v3, s[34:35]
	s_add_i32 s26, s26, 1
	s_add_u32 s16, s16, 4
	s_addc_u32 s17, s17, 0
	s_add_i32 s92, s92, -1
	s_cmp_lg_u32 s92, 0
	s_waitcnt vmcnt(0)
	v_fma_f32 v15, -v23, v15, v22
	global_store_dword v3, v15, s[30:31]
	s_cbranch_scc0 .LBB1_128
.LBB1_124:                              ;   Parent Loop BB1_17 Depth=1
                                        ;     Parent Loop BB1_28 Depth=2
                                        ;       Parent Loop BB1_76 Depth=3
                                        ; =>      This Inner Loop Header: Depth=4
	s_add_u32 s30, s60, s16
	s_addc_u32 s31, s61, s17
	global_load_dword v15, v3, s[30:31]
	s_waitcnt vmcnt(0)
	v_cmp_ne_u32_e32 vcc, 0, v15
	s_cbranch_vccz .LBB1_126
; %bb.125:                              ;   in Loop: Header=BB1_124 Depth=4
	s_add_u32 s34, s20, s16
	s_addc_u32 s35, s21, s17
	global_load_dwordx2 v[22:23], v3, s[34:35]
	s_lshl_b64 s[30:31], s[26:27], 2
	s_add_u32 s30, s20, s30
	s_addc_u32 s31, s21, s31
	s_waitcnt vmcnt(0)
	global_store_dword v3, v23, s[34:35]
	s_mov_b64 s[34:35], s[42:43]
	s_cbranch_execnz .LBB1_123
	s_branch .LBB1_127
.LBB1_126:                              ;   in Loop: Header=BB1_124 Depth=4
                                        ; implicit-def: $vgpr22
                                        ; implicit-def: $sgpr30_sgpr31
	s_mov_b64 s[34:35], s[42:43]
.LBB1_127:                              ;   in Loop: Header=BB1_124 Depth=4
	s_add_u32 s34, s20, s16
	s_addc_u32 s35, s21, s17
	s_add_u32 s30, s34, 4
	s_addc_u32 s31, s35, 0
	;; [unrolled: 2-line block ×3, first 2 shown]
	global_load_dword v22, v3, s[34:35] offset:4
	global_load_dword v23, v3, s[94:95]
	s_mov_b64 s[34:35], s[20:21]
	s_branch .LBB1_123
.LBB1_128:                              ;   in Loop: Header=BB1_76 Depth=3
	v_mul_f32_e32 v2, s52, v2
	v_mov_b32_e32 v15, s52
	v_cmp_eq_f32_e32 vcc, 0, v2
	v_cndmask_b32_e32 v2, v2, v15, vcc
	v_and_b32_e32 v15, 0x7fffffff, v2
	s_mov_b32 s26, s72
	s_branch .LBB1_131
.LBB1_129:                              ;   in Loop: Header=BB1_131 Depth=4
	v_mov_b32_e32 v26, v25
	v_mov_b32_e32 v22, v24
.LBB1_130:                              ;   in Loop: Header=BB1_131 Depth=4
	v_div_scale_f32 v23, s[16:17], v26, v26, v22
	v_rcp_f32_e32 v24, v23
	v_div_scale_f32 v25, vcc, v22, v26, v22
	s_add_i32 s16, s26, -1
	v_fma_f32 v27, -v23, v24, 1.0
	v_fmac_f32_e32 v24, v27, v24
	v_mul_f32_e32 v27, v25, v24
	v_fma_f32 v28, -v23, v27, v25
	v_fmac_f32_e32 v27, v28, v24
	v_fma_f32 v23, -v23, v27, v25
	v_div_fmas_f32 v23, v23, v24, v27
	v_div_fixup_f32 v22, v23, v26, v22
	s_cmp_gt_i32 s26, 0
	s_mov_b32 s26, s16
	global_store_dword v3, v22, s[92:93]
	s_cbranch_scc0 .LBB1_152
.LBB1_131:                              ;   Parent Loop BB1_17 Depth=1
                                        ;     Parent Loop BB1_28 Depth=2
                                        ;       Parent Loop BB1_76 Depth=3
                                        ; =>      This Loop Header: Depth=4
                                        ;           Child Loop BB1_138 Depth 5
	s_lshl_b64 s[16:17], s[26:27], 2
	s_add_u32 s92, s20, s16
	s_addc_u32 s93, s21, s17
	global_load_dword v22, v3, s[92:93]
	s_cmp_ge_i32 s26, s72
	s_cbranch_scc1 .LBB1_133
; %bb.132:                              ;   in Loop: Header=BB1_131 Depth=4
	s_add_u32 s30, s54, s16
	s_addc_u32 s31, s55, s17
	global_load_dword v23, v3, s[30:31]
	global_load_dword v24, v3, s[92:93] offset:4
	s_waitcnt vmcnt(0)
	v_fma_f32 v22, -v23, v24, v22
.LBB1_133:                              ;   in Loop: Header=BB1_131 Depth=4
	s_cmp_ge_i32 s26, s67
	s_cbranch_scc1 .LBB1_135
; %bb.134:                              ;   in Loop: Header=BB1_131 Depth=4
	s_add_u32 s30, s46, s16
	s_addc_u32 s31, s47, s17
	global_load_dword v23, v3, s[30:31]
	global_load_dword v24, v3, s[92:93] offset:8
	s_waitcnt vmcnt(0)
	v_fma_f32 v22, -v23, v24, v22
.LBB1_135:                              ;   in Loop: Header=BB1_131 Depth=4
	s_add_u32 s16, s38, s16
	s_addc_u32 s17, s39, s17
	global_load_dword v26, v3, s[16:17]
	s_waitcnt vmcnt(0)
	v_cmp_nlt_f32_e64 s[16:17], |v26|, 1.0
	s_and_b64 vcc, exec, s[16:17]
	s_cbranch_vccnz .LBB1_130
; %bb.136:                              ;   in Loop: Header=BB1_131 Depth=4
	v_cmp_nle_f32_e32 vcc, 0, v26
	v_and_b32_e32 v28, 0x7fffffff, v26
	v_cndmask_b32_e64 v27, |v2|, -v15, vcc
	v_mul_f32_e64 v24, |v22|, s53
	s_branch .LBB1_138
.LBB1_137:                              ;   in Loop: Header=BB1_138 Depth=5
	v_add_f32_e32 v25, v26, v27
	v_add_f32_e32 v27, v27, v27
	v_and_b32_e32 v28, 0x7fffffff, v25
	v_cmp_nlt_f32_e64 s[34:35], |v25|, 1.0
	s_mov_b64 s[16:17], 0
	s_mov_b64 s[30:31], 0
	v_mov_b32_e32 v23, v26
	s_andn2_b64 vcc, exec, s[34:35]
	v_mov_b32_e32 v26, v25
	s_cbranch_vccz .LBB1_144
.LBB1_138:                              ;   Parent Loop BB1_17 Depth=1
                                        ;     Parent Loop BB1_28 Depth=2
                                        ;       Parent Loop BB1_76 Depth=3
                                        ;         Parent Loop BB1_131 Depth=4
                                        ; =>        This Inner Loop Header: Depth=5
	v_cmp_ngt_f32_e32 vcc, s53, v28
	s_cbranch_vccz .LBB1_140
; %bb.139:                              ;   in Loop: Header=BB1_138 Depth=5
	v_mul_f32_e32 v23, v4, v28
	v_cmp_gt_f32_e64 s[94:95], |v22|, v23
	s_mov_b64 s[30:31], -1
	s_mov_b64 s[16:17], 0
	v_mov_b32_e32 v23, v26
	s_cbranch_execz .LBB1_141
	s_branch .LBB1_142
.LBB1_140:                              ;   in Loop: Header=BB1_138 Depth=5
	s_mov_b64 s[16:17], -1
	s_mov_b64 s[94:95], 0
                                        ; implicit-def: $sgpr30_sgpr31
	v_mov_b32_e32 v23, v26
.LBB1_141:                              ;   in Loop: Header=BB1_138 Depth=5
	v_cmp_eq_f32_e32 vcc, 0, v26
	v_cmp_gt_f32_e64 s[16:17], v24, v28
	s_or_b64 s[94:95], vcc, s[16:17]
	s_mov_b64 s[30:31], 0
	s_mov_b64 s[16:17], -1
	v_mov_b32_e32 v23, v26
.LBB1_142:                              ;   in Loop: Header=BB1_138 Depth=5
	s_andn2_b64 vcc, exec, s[94:95]
	s_cbranch_vccz .LBB1_137
; %bb.143:                              ;   in Loop: Header=BB1_131 Depth=4
                                        ; implicit-def: $vgpr27
                                        ; implicit-def: $vgpr25
                                        ; implicit-def: $vgpr28
	v_mov_b32_e32 v26, v25
.LBB1_144:                              ;   in Loop: Header=BB1_131 Depth=4
	s_mov_b64 s[34:35], -1
	s_and_b64 vcc, exec, s[30:31]
	s_cbranch_vccnz .LBB1_147
; %bb.145:                              ;   in Loop: Header=BB1_131 Depth=4
	s_xor_b64 s[16:17], s[16:17], -1
	s_and_b64 vcc, exec, s[16:17]
	s_cbranch_vccz .LBB1_148
; %bb.146:                              ;   in Loop: Header=BB1_131 Depth=4
	v_mov_b32_e32 v24, v22
	s_cbranch_execz .LBB1_149
	s_branch .LBB1_150
.LBB1_147:                              ;   in Loop: Header=BB1_131 Depth=4
                                        ; implicit-def: $vgpr25
	s_andn2_b64 vcc, exec, s[34:35]
	s_cbranch_vccnz .LBB1_129
	s_branch .LBB1_151
.LBB1_148:                              ;   in Loop: Header=BB1_131 Depth=4
                                        ; implicit-def: $vgpr25
	v_mov_b32_e32 v24, v22
.LBB1_149:                              ;   in Loop: Header=BB1_131 Depth=4
	v_pk_mul_f32 v[24:25], v[4:5], v[22:23]
.LBB1_150:                              ;   in Loop: Header=BB1_131 Depth=4
	s_cbranch_execnz .LBB1_129
.LBB1_151:                              ;   in Loop: Header=BB1_131 Depth=4
	v_mov_b32_e32 v25, v23
	v_mov_b32_e32 v24, v22
	s_branch .LBB1_129
.LBB1_152:                              ;   in Loop: Header=BB1_76 Depth=3
	s_or_b64 exec, exec, s[18:19]
	s_andn2_b64 vcc, exec, s[88:89]
	s_barrier
	s_cbranch_vccnz .LBB1_162
; %bb.153:                              ;   in Loop: Header=BB1_76 Depth=3
	s_and_b64 s[16:17], s[90:91], exec
	s_cselect_b32 s26, s86, s29
	s_cmp_eq_u32 s26, s86
	s_mov_b32 s29, s86
	s_cbranch_scc1 .LBB1_162
; %bb.154:                              ;   in Loop: Header=BB1_76 Depth=3
	s_cmp_lt_i32 s26, s86
	s_cselect_b64 s[16:17], -1, 0
	s_and_b64 s[18:19], s[0:1], s[16:17]
	s_and_saveexec_b64 s[16:17], s[18:19]
	s_cbranch_execz .LBB1_161
; %bb.155:                              ;   in Loop: Header=BB1_76 Depth=3
	s_mul_i32 s18, s37, s26
	s_add_i32 s29, s68, s18
	s_mov_b32 s34, s26
.LBB1_156:                              ;   Parent Loop BB1_17 Depth=1
                                        ;     Parent Loop BB1_28 Depth=2
                                        ;       Parent Loop BB1_76 Depth=3
                                        ; =>      This Loop Header: Depth=4
                                        ;           Child Loop BB1_157 Depth 5
                                        ;           Child Loop BB1_159 Depth 5
	v_mov_b32_e32 v2, 0
	s_mov_b64 s[18:19], s[20:21]
	s_mov_b32 s30, s29
	s_mov_b32 s35, s71
.LBB1_157:                              ;   Parent Loop BB1_17 Depth=1
                                        ;     Parent Loop BB1_28 Depth=2
                                        ;       Parent Loop BB1_76 Depth=3
                                        ;         Parent Loop BB1_156 Depth=4
                                        ; =>        This Inner Loop Header: Depth=5
	s_ashr_i32 s31, s30, 31
	s_lshl_b64 s[92:93], s[30:31], 2
	s_add_u32 s92, s36, s92
	s_addc_u32 s93, s49, s93
	global_load_dword v15, v3, s[18:19]
	global_load_dword v22, v3, s[92:93]
	s_add_i32 s35, s35, -1
	s_add_i32 s30, s30, 1
	s_add_u32 s18, s18, 4
	s_addc_u32 s19, s19, 0
	s_cmp_lg_u32 s35, 0
	s_waitcnt vmcnt(0)
	v_fmac_f32_e32 v2, v15, v22
	s_cbranch_scc1 .LBB1_157
; %bb.158:                              ;   in Loop: Header=BB1_156 Depth=4
	s_mov_b32 s30, 0
	s_mov_b64 s[18:19], s[20:21]
.LBB1_159:                              ;   Parent Loop BB1_17 Depth=1
                                        ;     Parent Loop BB1_28 Depth=2
                                        ;       Parent Loop BB1_76 Depth=3
                                        ;         Parent Loop BB1_156 Depth=4
                                        ; =>        This Inner Loop Header: Depth=5
	s_add_i32 s92, s29, s30
	s_ashr_i32 s93, s92, 31
	s_lshl_b64 s[92:93], s[92:93], 2
	s_add_u32 s92, s36, s92
	s_addc_u32 s93, s49, s93
	global_load_dword v15, v3, s[18:19]
	global_load_dword v22, v3, s[92:93]
	s_add_i32 s30, s30, 1
	s_waitcnt vmcnt(0)
	v_fma_f32 v15, -v2, v22, v15
	global_store_dword v3, v15, s[18:19]
	s_add_u32 s18, s18, 4
	s_addc_u32 s19, s19, 0
	s_cmp_lg_u32 s71, s30
	s_cbranch_scc1 .LBB1_159
; %bb.160:                              ;   in Loop: Header=BB1_156 Depth=4
	s_add_i32 s34, s34, 1
	s_add_i32 s29, s29, s37
	s_cmp_lt_i32 s34, s86
	s_cbranch_scc1 .LBB1_156
.LBB1_161:                              ;   in Loop: Header=BB1_76 Depth=3
	s_or_b64 exec, exec, s[16:17]
	s_mov_b32 s29, s26
	s_barrier
.LBB1_162:                              ;   in Loop: Header=BB1_76 Depth=3
	v_bfrev_b32_e32 v15, -2
	v_mov_b32_e32 v2, 0
	s_and_saveexec_b64 s[30:31], s[8:9]
	s_cbranch_execz .LBB1_166
; %bb.163:                              ;   in Loop: Header=BB1_76 Depth=3
	s_mov_b64 s[92:93], 0
	v_bfrev_b32_e32 v15, -2
	v_mov_b32_e32 v2, 0
	v_pk_mov_b32 v[22:23], v[8:9], v[8:9] op_sel:[0,1]
	v_mov_b32_e32 v24, v0
.LBB1_164:                              ;   Parent Loop BB1_17 Depth=1
                                        ;     Parent Loop BB1_28 Depth=2
                                        ;       Parent Loop BB1_76 Depth=3
                                        ; =>      This Inner Loop Header: Depth=4
	global_load_dword v25, v[22:23], off
	v_add_co_u32_e32 v22, vcc, 0x400, v22
	v_cmp_eq_u32_e64 s[16:17], s23, v15
	v_add_u32_e32 v26, 1, v24
	v_add_u32_e32 v24, 0x100, v24
	v_addc_co_u32_e32 v23, vcc, 0, v23, vcc
	v_cmp_lt_i32_e64 s[18:19], s72, v24
	s_waitcnt vmcnt(0)
	v_cmp_lt_f32_e64 s[34:35], v2, |v25|
	s_or_b64 vcc, s[34:35], s[16:17]
	v_cndmask_b32_e64 v2, v2, |v25|, vcc
	s_or_b64 s[92:93], s[18:19], s[92:93]
	v_cndmask_b32_e32 v15, v15, v26, vcc
	s_andn2_b64 exec, exec, s[92:93]
	s_cbranch_execnz .LBB1_164
; %bb.165:                              ;   in Loop: Header=BB1_76 Depth=3
	s_or_b64 exec, exec, s[92:93]
.LBB1_166:                              ;   in Loop: Header=BB1_76 Depth=3
	s_or_b64 exec, exec, s[30:31]
	ds_write2st64_b32 v31, v2, v15 offset1:8
	s_waitcnt lgkmcnt(0)
	s_barrier
	s_and_saveexec_b64 s[18:19], s[2:3]
	s_cbranch_execz .LBB1_172
; %bb.167:                              ;   in Loop: Header=BB1_76 Depth=3
	ds_read_b32 v22, v31 offset:512
	ds_read_b32 v23, v32 offset:512
	s_waitcnt lgkmcnt(1)
	v_cmp_lt_f32_e64 s[30:31], v2, v22
	v_cmp_nlt_f32_e32 vcc, v2, v22
	s_and_saveexec_b64 s[34:35], vcc
	s_cbranch_execz .LBB1_169
; %bb.168:                              ;   in Loop: Header=BB1_76 Depth=3
	v_cmp_eq_f32_e32 vcc, v2, v22
	s_waitcnt lgkmcnt(0)
	v_cmp_gt_i32_e64 s[16:17], v15, v23
	s_and_b64 s[16:17], vcc, s[16:17]
	s_andn2_b64 s[30:31], s[30:31], exec
	s_and_b64 s[16:17], s[16:17], exec
	s_or_b64 s[30:31], s[30:31], s[16:17]
.LBB1_169:                              ;   in Loop: Header=BB1_76 Depth=3
	s_or_b64 exec, exec, s[34:35]
	s_and_saveexec_b64 s[16:17], s[30:31]
	s_cbranch_execz .LBB1_171
; %bb.170:                              ;   in Loop: Header=BB1_76 Depth=3
	s_waitcnt lgkmcnt(0)
	v_mov_b32_e32 v15, v23
	v_mov_b32_e32 v2, v22
	ds_write2st64_b32 v31, v22, v23 offset1:8
.LBB1_171:                              ;   in Loop: Header=BB1_76 Depth=3
	s_or_b64 exec, exec, s[16:17]
.LBB1_172:                              ;   in Loop: Header=BB1_76 Depth=3
	s_or_b64 exec, exec, s[18:19]
	s_waitcnt lgkmcnt(0)
	s_barrier
	s_and_saveexec_b64 s[92:93], s[4:5]
	s_cbranch_execz .LBB1_199
; %bb.173:                              ;   in Loop: Header=BB1_76 Depth=3
	ds_read_b32 v22, v31 offset:256
	ds_read_b32 v23, v32 offset:256
	s_waitcnt lgkmcnt(1)
	v_cmp_lt_f32_e64 s[18:19], v2, v22
	v_cmp_nlt_f32_e32 vcc, v2, v22
	s_and_saveexec_b64 s[30:31], vcc
	s_cbranch_execz .LBB1_175
; %bb.174:                              ;   in Loop: Header=BB1_76 Depth=3
	v_cmp_eq_f32_e32 vcc, v2, v22
	s_waitcnt lgkmcnt(0)
	v_cmp_gt_i32_e64 s[16:17], v15, v23
	s_and_b64 s[16:17], vcc, s[16:17]
	s_andn2_b64 s[18:19], s[18:19], exec
	s_and_b64 s[16:17], s[16:17], exec
	s_or_b64 s[18:19], s[18:19], s[16:17]
.LBB1_175:                              ;   in Loop: Header=BB1_76 Depth=3
	s_or_b64 exec, exec, s[30:31]
	s_and_saveexec_b64 s[16:17], s[18:19]
	s_cbranch_execz .LBB1_177
; %bb.176:                              ;   in Loop: Header=BB1_76 Depth=3
	v_mov_b32_e32 v2, v22
	s_waitcnt lgkmcnt(0)
	v_mov_b32_e32 v15, v23
	ds_write2st64_b32 v31, v22, v23 offset1:8
.LBB1_177:                              ;   in Loop: Header=BB1_76 Depth=3
	s_or_b64 exec, exec, s[16:17]
	ds_read_b32 v22, v31 offset:128
	s_waitcnt lgkmcnt(1)
	ds_read_b32 v23, v32 offset:128
	s_waitcnt lgkmcnt(1)
	v_cmp_lt_f32_e64 s[18:19], v2, v22
	v_cmp_nlt_f32_e32 vcc, v2, v22
	s_and_saveexec_b64 s[30:31], vcc
	s_cbranch_execz .LBB1_179
; %bb.178:                              ;   in Loop: Header=BB1_76 Depth=3
	v_cmp_eq_f32_e32 vcc, v2, v22
	s_waitcnt lgkmcnt(0)
	v_cmp_gt_i32_e64 s[16:17], v15, v23
	s_and_b64 s[16:17], vcc, s[16:17]
	s_andn2_b64 s[18:19], s[18:19], exec
	s_and_b64 s[16:17], s[16:17], exec
	s_or_b64 s[18:19], s[18:19], s[16:17]
.LBB1_179:                              ;   in Loop: Header=BB1_76 Depth=3
	s_or_b64 exec, exec, s[30:31]
	s_and_saveexec_b64 s[16:17], s[18:19]
	s_cbranch_execz .LBB1_181
; %bb.180:                              ;   in Loop: Header=BB1_76 Depth=3
	v_mov_b32_e32 v2, v22
	s_waitcnt lgkmcnt(0)
	v_mov_b32_e32 v15, v23
	ds_write2st64_b32 v31, v22, v23 offset1:8
.LBB1_181:                              ;   in Loop: Header=BB1_76 Depth=3
	s_or_b64 exec, exec, s[16:17]
	ds_read_b32 v22, v31 offset:64
	s_waitcnt lgkmcnt(1)
	;; [unrolled: 27-line block ×6, first 2 shown]
	ds_read_b32 v23, v32 offset:4
	s_waitcnt lgkmcnt(1)
	v_cmp_eq_f32_e64 s[16:17], v2, v22
	s_waitcnt lgkmcnt(0)
	v_cmp_gt_i32_e64 s[18:19], v15, v23
	v_cmp_lt_f32_e32 vcc, v2, v22
	s_and_b64 s[16:17], s[16:17], s[18:19]
	s_or_b64 s[16:17], vcc, s[16:17]
	s_and_b64 exec, exec, s[16:17]
	s_cbranch_execz .LBB1_199
; %bb.198:                              ;   in Loop: Header=BB1_76 Depth=3
	ds_write2st64_b32 v31, v22, v23 offset1:8
.LBB1_199:                              ;   in Loop: Header=BB1_76 Depth=3
	s_or_b64 exec, exec, s[92:93]
	s_waitcnt lgkmcnt(0)
	s_barrier
	ds_read_b32 v2, v37
	s_waitcnt lgkmcnt(0)
	v_cmp_ge_f32_e32 vcc, v2, v42
	s_cmp_lg_u64 vcc, 0
	s_addc_u32 s87, s87, 0
	s_add_i32 s18, s51, 1
	s_cmp_lt_u32 s51, 4
	s_cselect_b64 s[30:31], -1, 0
	s_cmp_lt_u32 s87, 2
	s_cselect_b64 s[16:17], -1, 0
	s_and_b64 s[30:31], s[30:31], s[16:17]
	s_and_b64 vcc, exec, s[30:31]
	s_cbranch_vccz .LBB1_201
; %bb.200:                              ;   in Loop: Header=BB1_76 Depth=3
	s_mov_b32 s51, s18
	v_bfrev_b32_e32 v15, -2
	v_mov_b32_e32 v2, 0
	s_and_saveexec_b64 s[30:31], s[8:9]
	s_cbranch_execnz .LBB1_73
	s_branch .LBB1_76
.LBB1_201:                              ;   in Loop: Header=BB1_28 Depth=2
	v_readlane_b32 s18, v52, 14
	v_readlane_b32 s19, v52, 15
	s_and_b64 s[18:19], s[18:19], s[16:17]
	s_and_saveexec_b64 s[16:17], s[18:19]
	s_cbranch_execz .LBB1_203
; %bb.202:                              ;   in Loop: Header=BB1_28 Depth=2
	ds_read_b32 v22, v3
	v_readlane_b32 s30, v52, 2
	v_readlane_b32 s31, v52, 3
	s_add_i32 s18, s86, 1
	v_mov_b32_e32 v2, s31
	s_waitcnt lgkmcnt(0)
	v_ashrrev_i32_e32 v23, 31, v22
	v_lshlrev_b64 v[24:25], 2, v[22:23]
	v_add_co_u32_e32 v24, vcc, s30, v24
	v_addc_co_u32_e32 v25, vcc, v2, v25, vcc
	v_mov_b32_e32 v2, s18
	flat_store_dword v[24:25], v2
	v_add_u32_e32 v2, 1, v22
	ds_write_b32 v3, v2
.LBB1_203:                              ;   in Loop: Header=BB1_28 Depth=2
	s_or_b64 exec, exec, s[16:17]
	v_bfrev_b32_e32 v15, -2
	v_mov_b32_e32 v2, 0
	s_and_saveexec_b64 s[30:31], s[8:9]
	s_cbranch_execz .LBB1_207
; %bb.204:                              ;   in Loop: Header=BB1_28 Depth=2
	s_mov_b64 s[88:89], 0
	v_bfrev_b32_e32 v15, -2
	v_mov_b32_e32 v2, 0
	v_pk_mov_b32 v[22:23], v[8:9], v[8:9] op_sel:[0,1]
	v_mov_b32_e32 v24, v0
.LBB1_205:                              ;   Parent Loop BB1_17 Depth=1
                                        ;     Parent Loop BB1_28 Depth=2
                                        ; =>    This Inner Loop Header: Depth=3
	global_load_dword v25, v[22:23], off
	v_add_co_u32_e32 v22, vcc, 0x400, v22
	v_cmp_eq_u32_e64 s[16:17], s23, v15
	v_add_u32_e32 v26, 1, v24
	v_add_u32_e32 v24, 0x100, v24
	v_addc_co_u32_e32 v23, vcc, 0, v23, vcc
	v_cmp_lt_i32_e64 s[18:19], s72, v24
	s_waitcnt vmcnt(0)
	v_cmp_lt_f32_e64 s[34:35], v2, |v25|
	s_or_b64 vcc, s[34:35], s[16:17]
	v_cndmask_b32_e64 v2, v2, |v25|, vcc
	s_or_b64 s[88:89], s[18:19], s[88:89]
	v_cndmask_b32_e32 v15, v15, v26, vcc
	s_andn2_b64 exec, exec, s[88:89]
	s_cbranch_execnz .LBB1_205
; %bb.206:                              ;   in Loop: Header=BB1_28 Depth=2
	s_or_b64 exec, exec, s[88:89]
.LBB1_207:                              ;   in Loop: Header=BB1_28 Depth=2
	s_or_b64 exec, exec, s[30:31]
	ds_write2st64_b32 v31, v2, v15 offset1:8
	s_waitcnt lgkmcnt(0)
	s_barrier
	s_and_saveexec_b64 s[18:19], s[2:3]
	s_cbranch_execz .LBB1_213
; %bb.208:                              ;   in Loop: Header=BB1_28 Depth=2
	ds_read_b32 v22, v31 offset:512
	ds_read_b32 v23, v32 offset:512
	s_waitcnt lgkmcnt(0)
	v_cmp_lt_f32_e64 s[30:31], v2, v22
	v_cmp_nlt_f32_e32 vcc, v2, v22
	s_and_saveexec_b64 s[34:35], vcc
; %bb.209:                              ;   in Loop: Header=BB1_28 Depth=2
	v_cmp_eq_f32_e32 vcc, v2, v22
	v_cmp_gt_i32_e64 s[16:17], v15, v23
	s_and_b64 s[16:17], vcc, s[16:17]
	s_andn2_b64 s[30:31], s[30:31], exec
	s_and_b64 s[16:17], s[16:17], exec
	s_or_b64 s[30:31], s[30:31], s[16:17]
; %bb.210:                              ;   in Loop: Header=BB1_28 Depth=2
	s_or_b64 exec, exec, s[34:35]
	s_and_saveexec_b64 s[16:17], s[30:31]
	s_cbranch_execz .LBB1_212
; %bb.211:                              ;   in Loop: Header=BB1_28 Depth=2
	v_mov_b32_e32 v15, v23
	v_mov_b32_e32 v2, v22
	ds_write2st64_b32 v31, v22, v23 offset1:8
.LBB1_212:                              ;   in Loop: Header=BB1_28 Depth=2
	s_or_b64 exec, exec, s[16:17]
.LBB1_213:                              ;   in Loop: Header=BB1_28 Depth=2
	s_or_b64 exec, exec, s[18:19]
	s_waitcnt lgkmcnt(0)
	s_barrier
	s_and_saveexec_b64 s[88:89], s[4:5]
	s_cbranch_execz .LBB1_240
; %bb.214:                              ;   in Loop: Header=BB1_28 Depth=2
	ds_read_b32 v22, v31 offset:256
	ds_read_b32 v23, v32 offset:256
	s_waitcnt lgkmcnt(0)
	v_cmp_lt_f32_e64 s[18:19], v2, v22
	v_cmp_nlt_f32_e32 vcc, v2, v22
	s_and_saveexec_b64 s[30:31], vcc
; %bb.215:                              ;   in Loop: Header=BB1_28 Depth=2
	v_cmp_eq_f32_e32 vcc, v2, v22
	v_cmp_gt_i32_e64 s[16:17], v15, v23
	s_and_b64 s[16:17], vcc, s[16:17]
	s_andn2_b64 s[18:19], s[18:19], exec
	s_and_b64 s[16:17], s[16:17], exec
	s_or_b64 s[18:19], s[18:19], s[16:17]
; %bb.216:                              ;   in Loop: Header=BB1_28 Depth=2
	s_or_b64 exec, exec, s[30:31]
	s_and_saveexec_b64 s[16:17], s[18:19]
	s_cbranch_execz .LBB1_218
; %bb.217:                              ;   in Loop: Header=BB1_28 Depth=2
	v_mov_b32_e32 v2, v22
	v_mov_b32_e32 v15, v23
	ds_write2st64_b32 v31, v22, v23 offset1:8
.LBB1_218:                              ;   in Loop: Header=BB1_28 Depth=2
	s_or_b64 exec, exec, s[16:17]
	ds_read_b32 v22, v31 offset:128
	ds_read_b32 v23, v32 offset:128
	s_waitcnt lgkmcnt(0)
	v_cmp_lt_f32_e64 s[18:19], v2, v22
	v_cmp_nlt_f32_e32 vcc, v2, v22
	s_and_saveexec_b64 s[30:31], vcc
; %bb.219:                              ;   in Loop: Header=BB1_28 Depth=2
	v_cmp_eq_f32_e32 vcc, v2, v22
	v_cmp_gt_i32_e64 s[16:17], v15, v23
	s_and_b64 s[16:17], vcc, s[16:17]
	s_andn2_b64 s[18:19], s[18:19], exec
	s_and_b64 s[16:17], s[16:17], exec
	s_or_b64 s[18:19], s[18:19], s[16:17]
; %bb.220:                              ;   in Loop: Header=BB1_28 Depth=2
	s_or_b64 exec, exec, s[30:31]
	s_and_saveexec_b64 s[16:17], s[18:19]
	s_cbranch_execz .LBB1_222
; %bb.221:                              ;   in Loop: Header=BB1_28 Depth=2
	v_mov_b32_e32 v2, v22
	v_mov_b32_e32 v15, v23
	ds_write2st64_b32 v31, v22, v23 offset1:8
.LBB1_222:                              ;   in Loop: Header=BB1_28 Depth=2
	s_or_b64 exec, exec, s[16:17]
	;; [unrolled: 23-line block ×6, first 2 shown]
	ds_read_b32 v22, v31 offset:4
	ds_read_b32 v23, v32 offset:4
	s_waitcnt lgkmcnt(0)
	v_cmp_eq_f32_e64 s[16:17], v2, v22
	v_cmp_gt_i32_e64 s[18:19], v15, v23
	v_cmp_lt_f32_e32 vcc, v2, v22
	s_and_b64 s[16:17], s[16:17], s[18:19]
	s_or_b64 s[16:17], vcc, s[16:17]
	s_and_b64 exec, exec, s[16:17]
	s_cbranch_execz .LBB1_240
; %bb.239:                              ;   in Loop: Header=BB1_28 Depth=2
	ds_write2st64_b32 v31, v22, v23 offset1:8
.LBB1_240:                              ;   in Loop: Header=BB1_28 Depth=2
	s_or_b64 exec, exec, s[88:89]
	v_mov_b32_e32 v2, 0
	s_and_saveexec_b64 s[18:19], s[8:9]
	s_cbranch_execz .LBB1_244
; %bb.241:                              ;   in Loop: Header=BB1_28 Depth=2
	s_mov_b64 s[30:31], 0
	v_mov_b32_e32 v2, 0
	v_pk_mov_b32 v[22:23], v[8:9], v[8:9] op_sel:[0,1]
	v_mov_b32_e32 v15, v0
.LBB1_242:                              ;   Parent Loop BB1_17 Depth=1
                                        ;     Parent Loop BB1_28 Depth=2
                                        ; =>    This Inner Loop Header: Depth=3
	global_load_dword v24, v[22:23], off
	v_add_u32_e32 v15, 0x100, v15
	v_add_co_u32_e32 v22, vcc, 0x400, v22
	v_cmp_lt_i32_e64 s[16:17], s72, v15
	v_addc_co_u32_e32 v23, vcc, 0, v23, vcc
	s_or_b64 s[30:31], s[16:17], s[30:31]
	s_waitcnt vmcnt(0)
	v_fmac_f32_e32 v2, v24, v24
	s_andn2_b64 exec, exec, s[30:31]
	s_cbranch_execnz .LBB1_242
; %bb.243:                              ;   in Loop: Header=BB1_28 Depth=2
	s_or_b64 exec, exec, s[30:31]
.LBB1_244:                              ;   in Loop: Header=BB1_28 Depth=2
	s_or_b64 exec, exec, s[18:19]
	ds_write_b32 v31, v2 offset:1024
	s_waitcnt lgkmcnt(0)
	s_barrier
	s_and_saveexec_b64 s[16:17], s[2:3]
	s_cbranch_execz .LBB1_246
; %bb.245:                              ;   in Loop: Header=BB1_28 Depth=2
	ds_read_b32 v15, v31 offset:1536
	s_waitcnt lgkmcnt(0)
	v_add_f32_e32 v2, v2, v15
.LBB1_246:                              ;   in Loop: Header=BB1_28 Depth=2
	s_or_b64 exec, exec, s[16:17]
	s_barrier
	s_and_saveexec_b64 s[16:17], s[2:3]
	s_cbranch_execz .LBB1_248
; %bb.247:                              ;   in Loop: Header=BB1_28 Depth=2
	ds_write_b32 v31, v2 offset:1024
.LBB1_248:                              ;   in Loop: Header=BB1_28 Depth=2
	s_or_b64 exec, exec, s[16:17]
	s_waitcnt lgkmcnt(0)
	s_barrier
	s_and_saveexec_b64 s[16:17], s[4:5]
	s_cbranch_execz .LBB1_250
; %bb.249:                              ;   in Loop: Header=BB1_28 Depth=2
	ds_read2st64_b32 v[22:23], v31 offset0:4 offset1:5
	v_add_u32_e32 v2, 0x400, v31
	s_waitcnt lgkmcnt(0)
	v_add_f32_e32 v15, v22, v23
	ds_write_b32 v31, v15 offset:1024
	s_waitcnt vmcnt(0) lgkmcnt(0)
	buffer_wbinvl1_vol
	ds_read2_b32 v[22:23], v2 offset1:32
	s_waitcnt lgkmcnt(0)
	v_add_f32_e32 v15, v22, v23
	ds_write_b32 v31, v15 offset:1024
	s_waitcnt lgkmcnt(0)
	buffer_wbinvl1_vol
	ds_read2_b32 v[22:23], v2 offset1:16
	s_waitcnt lgkmcnt(0)
	v_add_f32_e32 v15, v22, v23
	ds_write_b32 v31, v15 offset:1024
	s_waitcnt lgkmcnt(0)
	;; [unrolled: 6-line block ×6, first 2 shown]
	buffer_wbinvl1_vol
.LBB1_250:                              ;   in Loop: Header=BB1_28 Depth=2
	s_or_b64 exec, exec, s[16:17]
	s_and_saveexec_b64 s[18:19], s[0:1]
	s_cbranch_execz .LBB1_252
; %bb.251:                              ;   in Loop: Header=BB1_28 Depth=2
	ds_read_b32 v2, v37 offset:1024
	s_mov_b32 s16, 0xf800000
	s_waitcnt lgkmcnt(0)
	v_mul_f32_e32 v15, 0x4f800000, v2
	v_cmp_gt_f32_e32 vcc, s16, v2
	v_cndmask_b32_e32 v2, v2, v15, vcc
	v_sqrt_f32_e32 v15, v2
	v_add_u32_e32 v22, -1, v15
	v_add_u32_e32 v23, 1, v15
	v_fma_f32 v24, -v22, v15, v2
	v_fma_f32 v25, -v23, v15, v2
	v_cmp_ge_f32_e64 s[16:17], 0, v24
	v_cndmask_b32_e64 v15, v15, v22, s[16:17]
	v_cmp_lt_f32_e64 s[16:17], 0, v25
	v_cndmask_b32_e64 v15, v15, v23, s[16:17]
	v_mul_f32_e32 v22, 0x37800000, v15
	v_cndmask_b32_e32 v15, v15, v22, vcc
	v_cmp_class_f32_e32 vcc, v2, v34
	v_cndmask_b32_e32 v2, v15, v2, vcc
	ds_write_b32 v37, v2 offset:1024
.LBB1_252:                              ;   in Loop: Header=BB1_28 Depth=2
	s_or_b64 exec, exec, s[18:19]
	s_waitcnt lgkmcnt(0)
	s_barrier
	ds_read2st64_b32 v[22:23], v37 offset0:4 offset1:8
	v_readlane_b32 s16, v52, 22
	v_mov_b32_e32 v2, s16
	v_readlane_b32 s16, v52, 21
	s_waitcnt lgkmcnt(0)
	v_ashrrev_i32_e32 v25, 31, v23
	v_mov_b32_e32 v24, v23
	v_lshlrev_b64 v[24:25], 2, v[24:25]
	v_add_co_u32_e32 v24, vcc, s16, v24
	v_addc_co_u32_e32 v25, vcc, v2, v25, vcc
	global_load_dword v2, v[24:25], off
	s_barrier
	s_and_saveexec_b64 s[16:17], s[8:9]
	s_cbranch_execz .LBB1_262
; %bb.253:                              ;   in Loop: Header=BB1_28 Depth=2
	s_waitcnt vmcnt(0)
	v_cmp_nle_f32_e32 vcc, 0, v2
	v_cndmask_b32_e64 v2, 1.0, -1.0, vcc
	v_div_scale_f32 v15, s[18:19], v22, v22, v2
	v_rcp_f32_e32 v23, v15
	v_div_scale_f32 v24, vcc, v2, v22, v2
	s_mov_b64 s[30:31], -1
	v_fma_f32 v25, -v15, v23, 1.0
	v_fmac_f32_e32 v23, v25, v23
	v_mul_f32_e32 v25, v24, v23
	v_fma_f32 v26, -v15, v25, v24
	v_fmac_f32_e32 v25, v26, v23
	v_fma_f32 v15, -v15, v25, v24
	v_div_fmas_f32 v15, v15, v23, v25
	v_div_fixup_f32 v22, v15, v22, v2
	v_mov_b32_e32 v2, v0
	v_pk_mov_b32 v[24:25], v[6:7], v[6:7] op_sel:[0,1]
	s_and_saveexec_b64 s[18:19], s[12:13]
	s_cbranch_execz .LBB1_259
; %bb.254:                              ;   in Loop: Header=BB1_28 Depth=2
	v_mov_b32_e32 v23, v22
	s_mov_b64 s[30:31], 0
	v_mov_b32_e32 v15, v44
	v_pk_mov_b32 v[24:25], v[0:1], v[0:1] op_sel:[0,1]
.LBB1_255:                              ;   Parent Loop BB1_17 Depth=1
                                        ;     Parent Loop BB1_28 Depth=2
                                        ; =>    This Inner Loop Header: Depth=3
	v_mov_b32_e32 v2, v24
	v_lshlrev_b64 v[26:27], 2, v[2:3]
	v_mov_b32_e32 v45, s21
	v_mov_b32_e32 v2, v25
	v_add_co_u32_e32 v26, vcc, s20, v26
	v_lshlrev_b64 v[28:29], 2, v[2:3]
	v_addc_co_u32_e32 v27, vcc, v45, v27, vcc
	v_add_co_u32_e32 v28, vcc, s20, v28
	v_addc_co_u32_e32 v29, vcc, v45, v29, vcc
	global_load_dword v46, v[26:27], off
	global_load_dword v47, v[28:29], off
	v_add_u32_e32 v15, -2, v15
	v_cmp_eq_u32_e32 vcc, 0, v15
	v_add_u32_e32 v24, 0x200, v24
	v_add_u32_e32 v25, 0x200, v25
	s_or_b64 s[30:31], vcc, s[30:31]
	s_waitcnt vmcnt(0)
	v_pk_mul_f32 v[46:47], v[22:23], v[46:47]
	global_store_dword v[26:27], v46, off
	global_store_dword v[28:29], v47, off
	s_andn2_b64 exec, exec, s[30:31]
	s_cbranch_execnz .LBB1_255
; %bb.256:                              ;   in Loop: Header=BB1_28 Depth=2
	s_or_b64 exec, exec, s[30:31]
	s_mov_b64 s[30:31], 0
                                        ; implicit-def: $vgpr24_vgpr25
	s_and_saveexec_b64 s[34:35], s[14:15]
; %bb.257:                              ;   in Loop: Header=BB1_28 Depth=2
	v_mov_b32_e32 v15, v3
	s_mov_b64 s[30:31], exec
	v_lshlrev_b64 v[24:25], 2, v[14:15]
; %bb.258:                              ;   in Loop: Header=BB1_28 Depth=2
	s_or_b64 exec, exec, s[34:35]
	s_orn2_b64 s[30:31], s[30:31], exec
	v_mov_b32_e32 v2, v14
.LBB1_259:                              ;   in Loop: Header=BB1_28 Depth=2
	s_or_b64 exec, exec, s[18:19]
	s_and_b64 exec, exec, s[30:31]
	s_cbranch_execz .LBB1_262
; %bb.260:                              ;   in Loop: Header=BB1_28 Depth=2
	v_mov_b32_e32 v15, s21
	v_add_co_u32_e32 v24, vcc, s20, v24
	v_addc_co_u32_e32 v25, vcc, v15, v25, vcc
	s_mov_b64 s[18:19], 0
.LBB1_261:                              ;   Parent Loop BB1_17 Depth=1
                                        ;     Parent Loop BB1_28 Depth=2
                                        ; =>    This Inner Loop Header: Depth=3
	global_load_dword v15, v[24:25], off
	v_add_u32_e32 v2, 0x100, v2
	v_cmp_lt_i32_e32 vcc, s72, v2
	s_or_b64 s[18:19], vcc, s[18:19]
	s_waitcnt vmcnt(0)
	v_mul_f32_e32 v15, v22, v15
	global_store_dword v[24:25], v15, off
	v_add_co_u32_e32 v24, vcc, 0x400, v24
	v_addc_co_u32_e32 v25, vcc, 0, v25, vcc
	s_andn2_b64 exec, exec, s[18:19]
	s_cbranch_execnz .LBB1_261
.LBB1_262:                              ;   in Loop: Header=BB1_28 Depth=2
	s_or_b64 exec, exec, s[16:17]
	s_barrier
.LBB1_263:                              ;   in Loop: Header=BB1_28 Depth=2
	s_and_saveexec_b64 s[18:19], s[6:7]
	s_cbranch_execz .LBB1_27
; %bb.264:                              ;   in Loop: Header=BB1_28 Depth=2
	s_mov_b64 s[30:31], 0
	v_pk_mov_b32 v[22:23], v[20:21], v[20:21] op_sel:[0,1]
	s_waitcnt vmcnt(0)
	v_mov_b32_e32 v2, v0
	s_branch .LBB1_266
.LBB1_265:                              ;   in Loop: Header=BB1_266 Depth=3
	s_or_b64 exec, exec, s[16:17]
	v_add_u32_e32 v24, s69, v2
	v_ashrrev_i32_e32 v25, 31, v24
	v_lshlrev_b64 v[24:25], 2, v[24:25]
	v_mov_b32_e32 v26, s49
	v_add_co_u32_e32 v24, vcc, s36, v24
	v_addc_co_u32_e32 v25, vcc, v26, v25, vcc
	v_add_u32_e32 v2, 0x100, v2
	v_add_co_u32_e32 v22, vcc, 0x400, v22
	v_cmp_le_i32_e64 s[16:17], s28, v2
	s_or_b64 s[30:31], s[16:17], s[30:31]
	v_addc_co_u32_e32 v23, vcc, 0, v23, vcc
	s_waitcnt vmcnt(0)
	global_store_dword v[24:25], v15, off
	s_andn2_b64 exec, exec, s[30:31]
	s_cbranch_execz .LBB1_27
.LBB1_266:                              ;   Parent Loop BB1_17 Depth=1
                                        ;     Parent Loop BB1_28 Depth=2
                                        ; =>    This Inner Loop Header: Depth=3
	v_cmp_le_i32_e32 vcc, s68, v2
	v_cmp_gt_i32_e64 s[16:17], s70, v2
	s_and_b64 s[34:35], vcc, s[16:17]
	v_mov_b32_e32 v15, 0
	s_and_saveexec_b64 s[16:17], s[34:35]
	s_cbranch_execz .LBB1_265
; %bb.267:                              ;   in Loop: Header=BB1_266 Depth=3
	global_load_dword v15, v[22:23], off
	s_branch .LBB1_265
.LBB1_268:
	s_and_saveexec_b64 s[2:3], s[0:1]
	s_cbranch_execz .LBB1_270
; %bb.269:
	v_mov_b32_e32 v0, 0
	ds_read_b32 v1, v0
	v_readlane_b32 s4, v52, 4
	v_readlane_b32 s6, v52, 6
	;; [unrolled: 1-line block ×6, first 2 shown]
	s_mov_b64 s[6:7], s[10:11]
	v_readlane_b32 s1, v52, 1
	s_add_u32 s0, s6, s0
	s_addc_u32 s1, s7, s1
	v_readlane_b32 s5, v52, 5
	v_readlane_b32 s8, v52, 8
	;; [unrolled: 1-line block ×3, first 2 shown]
	s_waitcnt lgkmcnt(0)
	global_store_dword v0, v1, s[0:1]
.LBB1_270:
	s_endpgm
	.section	.rodata,"a",@progbits
	.p2align	6, 0x0
	.amdhsa_kernel _ZN9rocsolver6v33100L12stein_kernelIffPfEEviPT0_lS4_lPiS4_lS5_lS5_lT1_iilS5_lS5_S4_S5_S3_S3_
		.amdhsa_group_segment_fixed_size 8
		.amdhsa_private_segment_fixed_size 0
		.amdhsa_kernarg_size 168
		.amdhsa_user_sgpr_count 6
		.amdhsa_user_sgpr_private_segment_buffer 1
		.amdhsa_user_sgpr_dispatch_ptr 0
		.amdhsa_user_sgpr_queue_ptr 0
		.amdhsa_user_sgpr_kernarg_segment_ptr 1
		.amdhsa_user_sgpr_dispatch_id 0
		.amdhsa_user_sgpr_flat_scratch_init 0
		.amdhsa_user_sgpr_kernarg_preload_length 0
		.amdhsa_user_sgpr_kernarg_preload_offset 0
		.amdhsa_user_sgpr_private_segment_size 0
		.amdhsa_uses_dynamic_stack 0
		.amdhsa_system_sgpr_private_segment_wavefront_offset 0
		.amdhsa_system_sgpr_workgroup_id_x 1
		.amdhsa_system_sgpr_workgroup_id_y 1
		.amdhsa_system_sgpr_workgroup_id_z 0
		.amdhsa_system_sgpr_workgroup_info 0
		.amdhsa_system_vgpr_workitem_id 0
		.amdhsa_next_free_vgpr 53
		.amdhsa_next_free_sgpr 96
		.amdhsa_accum_offset 56
		.amdhsa_reserve_vcc 1
		.amdhsa_reserve_flat_scratch 0
		.amdhsa_float_round_mode_32 0
		.amdhsa_float_round_mode_16_64 0
		.amdhsa_float_denorm_mode_32 3
		.amdhsa_float_denorm_mode_16_64 3
		.amdhsa_dx10_clamp 1
		.amdhsa_ieee_mode 1
		.amdhsa_fp16_overflow 0
		.amdhsa_tg_split 0
		.amdhsa_exception_fp_ieee_invalid_op 0
		.amdhsa_exception_fp_denorm_src 0
		.amdhsa_exception_fp_ieee_div_zero 0
		.amdhsa_exception_fp_ieee_overflow 0
		.amdhsa_exception_fp_ieee_underflow 0
		.amdhsa_exception_fp_ieee_inexact 0
		.amdhsa_exception_int_div_zero 0
	.end_amdhsa_kernel
	.section	.text._ZN9rocsolver6v33100L12stein_kernelIffPfEEviPT0_lS4_lPiS4_lS5_lS5_lT1_iilS5_lS5_S4_S5_S3_S3_,"axG",@progbits,_ZN9rocsolver6v33100L12stein_kernelIffPfEEviPT0_lS4_lPiS4_lS5_lS5_lT1_iilS5_lS5_S4_S5_S3_S3_,comdat
.Lfunc_end1:
	.size	_ZN9rocsolver6v33100L12stein_kernelIffPfEEviPT0_lS4_lPiS4_lS5_lS5_lT1_iilS5_lS5_S4_S5_S3_S3_, .Lfunc_end1-_ZN9rocsolver6v33100L12stein_kernelIffPfEEviPT0_lS4_lPiS4_lS5_lS5_lT1_iilS5_lS5_S4_S5_S3_S3_
                                        ; -- End function
	.section	.AMDGPU.csdata,"",@progbits
; Kernel info:
; codeLenInByte = 10912
; NumSgprs: 100
; NumVgprs: 53
; NumAgprs: 0
; TotalNumVgprs: 53
; ScratchSize: 0
; MemoryBound: 0
; FloatMode: 240
; IeeeMode: 1
; LDSByteSize: 8 bytes/workgroup (compile time only)
; SGPRBlocks: 12
; VGPRBlocks: 6
; NumSGPRsForWavesPerEU: 100
; NumVGPRsForWavesPerEU: 53
; AccumOffset: 56
; Occupancy: 8
; WaveLimiterHint : 1
; COMPUTE_PGM_RSRC2:SCRATCH_EN: 0
; COMPUTE_PGM_RSRC2:USER_SGPR: 6
; COMPUTE_PGM_RSRC2:TRAP_HANDLER: 0
; COMPUTE_PGM_RSRC2:TGID_X_EN: 1
; COMPUTE_PGM_RSRC2:TGID_Y_EN: 1
; COMPUTE_PGM_RSRC2:TGID_Z_EN: 0
; COMPUTE_PGM_RSRC2:TIDIG_COMP_CNT: 0
; COMPUTE_PGM_RSRC3_GFX90A:ACCUM_OFFSET: 13
; COMPUTE_PGM_RSRC3_GFX90A:TG_SPLIT: 0
	.section	.text._ZN9rocsolver6v33100L12stein_kernelIddPdEEviPT0_lS4_lPiS4_lS5_lS5_lT1_iilS5_lS5_S4_S5_S3_S3_,"axG",@progbits,_ZN9rocsolver6v33100L12stein_kernelIddPdEEviPT0_lS4_lPiS4_lS5_lS5_lT1_iilS5_lS5_S4_S5_S3_S3_,comdat
	.globl	_ZN9rocsolver6v33100L12stein_kernelIddPdEEviPT0_lS4_lPiS4_lS5_lS5_lT1_iilS5_lS5_S4_S5_S3_S3_ ; -- Begin function _ZN9rocsolver6v33100L12stein_kernelIddPdEEviPT0_lS4_lPiS4_lS5_lS5_lT1_iilS5_lS5_S4_S5_S3_S3_
	.p2align	8
	.type	_ZN9rocsolver6v33100L12stein_kernelIddPdEEviPT0_lS4_lPiS4_lS5_lS5_lT1_iilS5_lS5_S4_S5_S3_S3_,@function
_ZN9rocsolver6v33100L12stein_kernelIddPdEEviPT0_lS4_lPiS4_lS5_lS5_lT1_iilS5_lS5_S4_S5_S3_S3_: ; @_ZN9rocsolver6v33100L12stein_kernelIddPdEEviPT0_lS4_lPiS4_lS5_lS5_lT1_iilS5_lS5_S4_S5_S3_S3_
; %bb.0:
	s_load_dwordx16 s[36:51], s[4:5], 0x8
	s_mov_b32 s8, s7
	s_ashr_i32 s9, s7, 31
	s_lshl_b64 s[2:3], s[8:9], 2
	s_waitcnt lgkmcnt(0)
	s_add_u32 s0, s44, s2
	s_addc_u32 s1, s45, s3
	s_load_dword s60, s[0:1], 0x0
	s_waitcnt lgkmcnt(0)
	s_cmp_lt_i32 s60, 1
	s_cbranch_scc1 .LBB2_249
; %bb.1:
	s_load_dwordx16 s[12:27], s[4:5], 0x70
                                        ; implicit-def: $vgpr64 : SGPR spill to VGPR lane
	s_mov_b64 s[28:29], 0
	v_writelane_b32 v64, s2, 0
	v_writelane_b32 v64, s3, 1
	s_waitcnt lgkmcnt(0)
	s_cmp_eq_u64 s[14:15], 0
	s_cbranch_scc1 .LBB2_3
; %bb.2:
	s_mul_i32 s0, s8, s17
	s_mul_hi_u32 s1, s8, s16
	s_add_i32 s0, s1, s0
	s_mul_i32 s1, s9, s16
	s_add_i32 s1, s0, s1
	s_mul_i32 s0, s8, s16
	s_lshl_b64 s[0:1], s[0:1], 2
	s_add_u32 s28, s14, s0
	s_addc_u32 s29, s15, s1
.LBB2_3:
	v_cmp_eq_u32_e64 s[0:1], 0, v0
	s_and_saveexec_b64 s[2:3], s[0:1]
	s_cbranch_execz .LBB2_5
; %bb.4:
	v_mov_b32_e32 v1, 0
	ds_write_b32 v1, v1
.LBB2_5:
	s_or_b64 exec, exec, s[2:3]
	s_cmp_lg_u64 s[28:29], 0
	s_cselect_b64 s[6:7], -1, 0
	v_cmp_gt_u32_e32 vcc, s60, v0
	s_and_b64 s[2:3], vcc, s[6:7]
	s_and_saveexec_b64 s[10:11], s[2:3]
	s_cbranch_execz .LBB2_13
; %bb.6:
	v_or_b32_e32 v1, 0x100, v0
	v_max_i32_e32 v2, s60, v1
	v_xad_u32 v3, v0, -1, v2
	s_movk_i32 s2, 0x2ff
	v_cmp_lt_u32_e32 vcc, s2, v3
	s_mov_b64 s[2:3], -1
	v_mov_b32_e32 v2, v0
	s_and_saveexec_b64 s[14:15], vcc
	s_cbranch_execz .LBB2_10
; %bb.7:
	v_lshrrev_b32_e32 v2, 8, v3
	v_add_u32_e32 v6, 1, v2
	v_and_b32_e32 v7, 0x1fffffc, v6
	s_mov_b64 s[16:17], 0
	v_mov_b32_e32 v8, s29
	v_mov_b32_e32 v3, 0
	v_mov_b32_e32 v9, v7
	v_pk_mov_b32 v[4:5], v[0:1], v[0:1] op_sel:[0,1]
.LBB2_8:                                ; =>This Inner Loop Header: Depth=1
	v_mov_b32_e32 v2, v4
	v_lshlrev_b64 v[14:15], 2, v[2:3]
	v_add_u32_e32 v12, 0x200, v4
	v_mov_b32_e32 v13, v3
	v_add_co_u32_e64 v14, s[2:3], s28, v14
	v_lshlrev_b64 v[12:13], 2, v[12:13]
	v_addc_co_u32_e64 v15, s[2:3], v8, v15, s[2:3]
	v_add_u32_e32 v10, 0x200, v5
	v_mov_b32_e32 v11, v3
	v_add_u32_e32 v9, -4, v9
	v_mov_b32_e32 v2, v5
	v_add_co_u32_e64 v12, s[2:3], s28, v12
	v_lshlrev_b64 v[10:11], 2, v[10:11]
	v_cmp_eq_u32_e32 vcc, 0, v9
	v_lshlrev_b64 v[16:17], 2, v[2:3]
	v_addc_co_u32_e64 v13, s[2:3], v8, v13, s[2:3]
	v_add_u32_e32 v4, 0x400, v4
	v_add_u32_e32 v5, 0x400, v5
	v_add_co_u32_e64 v10, s[2:3], s28, v10
	s_or_b64 s[16:17], vcc, s[16:17]
	v_add_co_u32_e32 v16, vcc, s28, v16
	v_addc_co_u32_e64 v11, s[2:3], v8, v11, s[2:3]
	v_addc_co_u32_e32 v17, vcc, v8, v17, vcc
	flat_store_dword v[14:15], v3
	flat_store_dword v[16:17], v3
	;; [unrolled: 1-line block ×4, first 2 shown]
	s_andn2_b64 exec, exec, s[16:17]
	s_cbranch_execnz .LBB2_8
; %bb.9:
	s_or_b64 exec, exec, s[16:17]
	v_cmp_ne_u32_e32 vcc, v6, v7
	v_lshl_or_b32 v2, v7, 8, v0
	s_orn2_b64 s[2:3], vcc, exec
.LBB2_10:
	s_or_b64 exec, exec, s[14:15]
	s_and_b64 exec, exec, s[2:3]
	s_cbranch_execz .LBB2_13
; %bb.11:
	v_mov_b32_e32 v3, 0
	v_lshlrev_b64 v[4:5], 2, v[2:3]
	v_mov_b32_e32 v1, s29
	v_add_co_u32_e32 v4, vcc, s28, v4
	v_addc_co_u32_e32 v5, vcc, v1, v5, vcc
	s_mov_b64 s[14:15], 0
.LBB2_12:                               ; =>This Inner Loop Header: Depth=1
	v_add_u32_e32 v2, 0x100, v2
	flat_store_dword v[4:5], v3
	v_add_co_u32_e32 v4, vcc, 0x400, v4
	v_cmp_le_i32_e64 s[2:3], s60, v2
	s_or_b64 s[14:15], s[2:3], s[14:15]
	v_addc_co_u32_e32 v5, vcc, 0, v5, vcc
	s_andn2_b64 exec, exec, s[14:15]
	s_cbranch_execnz .LBB2_12
.LBB2_13:
	v_writelane_b32 v64, s28, 2
	v_writelane_b32 v64, s29, 3
	s_or_b64 exec, exec, s[10:11]
	s_load_dwordx8 s[52:59], s[4:5], 0x48
	s_mov_b32 s17, 0
	s_mov_b32 s61, s17
	v_mov_b32_e32 v6, 0
	s_waitcnt lgkmcnt(0)
	s_mul_i32 s3, s8, s53
	s_mul_hi_u32 s10, s8, s52
	s_mul_i32 s11, s9, s52
	s_add_i32 s3, s10, s3
	s_mul_i32 s2, s8, s52
	s_add_i32 s3, s3, s11
	s_lshl_b64 s[2:3], s[2:3], 2
	s_add_u32 s33, s50, s2
	s_addc_u32 s28, s51, s3
	s_lshl_b64 s[2:3], s[60:61], 2
	s_add_u32 s2, s33, s2
	s_addc_u32 s3, s28, s3
	v_writelane_b32 v64, s2, 4
	v_writelane_b32 v64, s3, 5
	s_nop 3
	global_load_dword v4, v6, s[2:3] offset:-4
	s_waitcnt vmcnt(0)
	v_cmp_gt_i32_e32 vcc, 1, v4
	s_cbranch_vccnz .LBB2_247
; %bb.14:
	s_load_dword s50, s[4:5], 0x0
	s_load_dwordx2 s[52:53], s[4:5], 0x68
	s_mul_i32 s2, s8, s39
	s_mul_hi_u32 s3, s8, s38
	s_add_i32 s2, s3, s2
	s_mul_i32 s3, s9, s38
	s_add_i32 s3, s2, s3
	s_mul_i32 s2, s8, s38
	s_waitcnt lgkmcnt(0)
	s_ashr_i32 s51, s50, 31
	s_lshl_b64 s[2:3], s[2:3], 3
	s_add_u32 s38, s36, s2
	s_addc_u32 s39, s37, s3
	s_mul_i32 s2, s8, s43
	s_mul_hi_u32 s3, s8, s42
	s_add_i32 s2, s3, s2
	s_mul_i32 s3, s9, s42
	s_add_i32 s3, s2, s3
	s_mul_i32 s2, s8, s42
	s_lshl_b64 s[2:3], s[2:3], 3
	s_add_u32 s42, s40, s2
	s_addc_u32 s43, s41, s3
	s_mul_i32 s2, s8, s49
	s_mul_hi_u32 s3, s8, s48
	s_add_i32 s2, s3, s2
	s_mul_i32 s3, s9, s48
	s_add_i32 s3, s2, s3
	s_mul_i32 s2, s8, s48
	;; [unrolled: 9-line block ×3, first 2 shown]
	s_lshl_b64 s[2:3], s[2:3], 2
	s_mul_i32 s4, s50, 5
	s_add_u32 s44, s54, s2
	s_addc_u32 s89, s55, s3
	s_mul_hi_i32 s3, s4, s8
	s_mul_i32 s2, s4, s8
	s_lshl_b64 s[10:11], s[2:3], 3
	s_add_u32 s36, s20, s10
	s_mul_hi_i32 s5, s50, s8
	s_mul_i32 s4, s50, s8
	s_addc_u32 s37, s21, s11
	s_lshl_b64 s[4:5], s[4:5], 2
	s_add_u32 s74, s22, s4
	s_mul_i32 s13, s8, s13
	s_mul_hi_u32 s14, s8, s12
	s_addc_u32 s75, s23, s5
	s_add_i32 s13, s14, s13
	s_mul_i32 s9, s9, s12
	s_add_i32 s9, s13, s9
	s_mul_i32 s8, s8, s12
	s_ashr_i32 s5, s52, 31
	s_lshl_b64 s[8:9], s[8:9], 3
	s_mov_b32 s4, s52
	s_add_u32 s8, s58, s8
	s_addc_u32 s9, s59, s9
	s_lshl_b64 s[4:5], s[4:5], 3
	s_add_u32 s52, s8, s4
	s_mul_i32 s22, s50, 3
	s_addc_u32 s56, s9, s5
	s_ashr_i32 s23, s22, 31
	s_lshl_b64 s[12:13], s[22:23], 3
	s_add_u32 s40, s36, s12
	s_addc_u32 s41, s37, s13
	s_lshl_b64 s[4:5], s[50:51], 4
	s_sub_u32 s14, s40, s4
	s_subb_u32 s15, s41, s5
	s_lshl_b64 s[8:9], s[50:51], 3
	s_add_u32 s46, s14, s8
	v_writelane_b32 v64, s14, 6
	s_addc_u32 s47, s15, s9
	s_add_u32 s48, s46, s4
	v_writelane_b32 v64, s15, 7
	s_addc_u32 s49, s47, s5
	s_add_i32 s14, 8, 0x1000
	s_mul_i32 s16, s50, 0xffffffe8
	s_mul_hi_i32 s15, s50, 0xffffffe8
	s_add_u32 s16, s48, s16
	s_addc_u32 s15, s49, s15
	s_add_u32 s54, s16, 8
	s_addc_u32 s55, s15, 0
	s_and_b64 s[6:7], s[0:1], s[6:7]
	v_writelane_b32 v64, s6, 8
	v_writelane_b32 v64, s7, 9
	s_add_u32 s6, s44, -4
	v_writelane_b32 v64, s6, 10
	s_addc_u32 s6, s89, -1
	s_add_u32 s16, s38, -8
	s_addc_u32 s45, s39, -1
	v_writelane_b32 v64, s6, 11
	s_add_u32 s6, s42, -16
	v_writelane_b32 v64, s6, 12
	s_addc_u32 s6, s43, -1
	v_writelane_b32 v64, s6, 13
	s_add_u32 s6, s36, -8
	v_writelane_b32 v64, s6, 14
	s_addc_u32 s6, s37, -1
	v_writelane_b32 v64, s6, 15
	s_add_u32 s6, s42, 8
	v_writelane_b32 v64, s6, 16
	s_addc_u32 s6, s43, 0
	v_writelane_b32 v64, s6, 17
	s_add_u32 s6, s38, 8
	v_writelane_b32 v64, s6, 18
	s_addc_u32 s6, s39, 0
	s_add_u32 s10, s10, s12
	s_addc_u32 s11, s11, s13
	s_add_u32 s12, s10, s20
	s_addc_u32 s13, s11, s21
	s_lshl_b32 s57, s50, 1
	v_writelane_b32 v64, s6, 19
	s_sub_u32 s6, s10, s4
	s_subb_u32 s7, s11, s5
	v_writelane_b32 v64, s6, 20
	v_writelane_b32 v64, s7, 21
	s_add_u32 s2, s2, s22
	v_writelane_b32 v64, s22, 22
	s_addc_u32 s3, s3, s23
	s_add_u32 s6, s2, s50
	s_addc_u32 s7, s3, s51
	v_writelane_b32 v64, s23, 23
	s_lshl_b64 s[6:7], s[6:7], 3
	v_writelane_b32 v64, s6, 24
	s_lshl_b64 s[2:3], s[2:3], 3
	v_writelane_b32 v64, s7, 25
	s_sub_u32 s6, s2, s8
	s_subb_u32 s7, s3, s9
	v_writelane_b32 v64, s6, 26
	v_writelane_b32 v64, s7, 27
	s_add_u32 s6, s10, 8
	s_addc_u32 s7, s11, 0
	v_writelane_b32 v64, s6, 28
	v_writelane_b32 v64, s7, 29
	v_div_scale_f64 v[2:3], s[6:7], s[26:27], s[26:27], 1.0
	v_rcp_f64_e32 v[8:9], v[2:3]
	v_lshlrev_b32_e32 v5, 3, v0
	v_mov_b32_e32 v1, s37
	s_add_u32 s66, s12, 16
	v_fma_f64 v[10:11], -v[2:3], v[8:9], 1.0
	v_fmac_f64_e32 v[8:9], v[8:9], v[10:11]
	v_fma_f64 v[10:11], -v[2:3], v[8:9], 1.0
	v_fmac_f64_e32 v[8:9], v[8:9], v[10:11]
	v_div_scale_f64 v[10:11], vcc, 1.0, s[26:27], 1.0
	v_mul_f64 v[12:13], v[10:11], v[8:9]
	v_fma_f64 v[2:3], -v[2:3], v[12:13], v[10:11]
	v_writelane_b32 v64, s39, 30
	s_nop 0
	v_div_fmas_f64 v[2:3], v[2:3], v[8:9], v[12:13]
	v_add_co_u32_e32 v8, vcc, s36, v5
	v_addc_co_u32_e32 v9, vcc, 0, v1, vcc
	v_add_u32_e32 v12, s50, v0
	s_addc_u32 s67, s13, 0
	v_mov_b32_e32 v1, s13
	v_add_co_u32_e32 v10, vcc, s12, v5
	v_ashrrev_i32_e32 v13, 31, v12
	v_writelane_b32 v64, s38, 31
	s_sub_u32 s2, s2, s4
	v_addc_co_u32_e32 v11, vcc, 0, v1, vcc
	v_lshlrev_b64 v[12:13], 3, v[12:13]
	v_writelane_b32 v64, s43, 32
	s_subb_u32 s3, s3, s5
	v_mov_b32_e32 v1, s37
	v_add_co_u32_e32 v7, vcc, s36, v12
	v_writelane_b32 v64, s42, 33
	v_addc_co_u32_e32 v1, vcc, v1, v13, vcc
	s_add_u32 s2, s2, s20
	v_writelane_b32 v64, s44, 34
	v_add_co_u32_e32 v12, vcc, 8, v7
	s_addc_u32 s3, s3, s21
	v_writelane_b32 v64, s16, 35
	v_addc_co_u32_e32 v13, vcc, 0, v1, vcc
	v_lshlrev_b32_e32 v1, 2, v0
	s_add_u32 s68, s2, 16
	v_max_f64 v[14:15], s[24:25], s[24:25]
	v_add_u32_e32 v49, 8, v5
	s_movk_i32 s2, 0x80
	v_cmp_gt_i32_e64 s[62:63], s50, v0
	s_mov_b32 s76, 0xff800000
	v_writelane_b32 v64, s45, 36
	v_add_u32_e32 v48, s14, v1
	s_addc_u32 s69, s3, 0
	v_max_f64 v[14:15], v[14:15], 0
	v_sub_u32_e32 v50, v49, v1
	v_div_fixup_f64 v[16:17], v[2:3], s[26:27], 1.0
	v_mov_b32_e32 v51, 0x260
	v_mov_b32_e32 v52, 1
	;; [unrolled: 1-line block ×4, first 2 shown]
	v_cmp_gt_u32_e64 s[2:3], s2, v0
	s_brev_b32 s51, -2
	s_mov_b32 s78, 0x5e4789c9
	s_mov_b32 s79, 0xbc8f
	s_movk_i32 s34, 0xf2b9
	s_mov_b32 s35, 0x4f7a09cd
	s_mov_b32 s31, 0x9ef4
	s_movk_i32 s29, 0xf131
	s_movk_i32 s6, 0x800
	s_mov_b32 s30, 0
	v_cmp_gt_u32_e64 s[4:5], 64, v0
	s_mov_b32 s77, 0x41dfffff
	s_mov_b32 s80, s17
	v_writelane_b32 v64, s62, 37
                                        ; implicit-def: $vgpr18_vgpr19
                                        ; implicit-def: $vgpr24_vgpr25
                                        ; implicit-def: $vgpr22_vgpr23
                                        ; implicit-def: $vgpr20_vgpr21
                                        ; implicit-def: $sgpr7
	v_writelane_b32 v64, s63, 38
	s_branch .LBB2_17
.LBB2_15:                               ;   in Loop: Header=BB2_17 Depth=1
	v_readlane_b32 s8, v64, 4
	v_readlane_b32 s9, v64, 5
	s_mov_b32 s30, s14
	v_readlane_b32 s38, v64, 31
	v_readlane_b32 s39, v64, 30
	;; [unrolled: 1-line block ×4, first 2 shown]
	global_load_dword v4, v6, s[8:9] offset:-4
	v_readlane_b32 s44, v64, 34
	v_readlane_b32 s16, v64, 35
	;; [unrolled: 1-line block ×3, first 2 shown]
.LBB2_16:                               ;   in Loop: Header=BB2_17 Depth=1
	s_add_i32 s80, s80, 1
	s_waitcnt vmcnt(0)
	v_cmp_ge_i32_e32 vcc, s80, v4
	s_cbranch_vccnz .LBB2_247
.LBB2_17:                               ; =>This Loop Header: Depth=1
                                        ;     Child Loop BB2_22 Depth 2
                                        ;     Child Loop BB2_27 Depth 2
                                        ;       Child Loop BB2_38 Depth 3
                                        ;       Child Loop BB2_41 Depth 3
	;; [unrolled: 1-line block ×5, first 2 shown]
                                        ;         Child Loop BB2_110 Depth 4
                                        ;         Child Loop BB2_113 Depth 4
	;; [unrolled: 1-line block ×4, first 2 shown]
                                        ;           Child Loop BB2_130 Depth 5
                                        ;         Child Loop BB2_142 Depth 4
                                        ;           Child Loop BB2_143 Depth 5
                                        ;           Child Loop BB2_145 Depth 5
                                        ;         Child Loop BB2_150 Depth 4
                                        ;       Child Loop BB2_191 Depth 3
                                        ;       Child Loop BB2_228 Depth 3
	;; [unrolled: 1-line block ×4, first 2 shown]
	s_mov_b32 s82, 0
	s_cmp_eq_u32 s80, 0
	s_mov_b64 s[8:9], 0
	s_cbranch_scc1 .LBB2_19
; %bb.18:                               ;   in Loop: Header=BB2_17 Depth=1
	s_mov_b32 s81, s17
	s_lshl_b64 s[8:9], s[80:81], 2
	v_readlane_b32 s10, v64, 10
	s_add_u32 s8, s10, s8
	v_readlane_b32 s10, v64, 11
	s_addc_u32 s9, s10, s9
	global_load_dword v2, v6, s[8:9]
	s_mov_b64 s[8:9], s[80:81]
	s_waitcnt vmcnt(0)
	v_readfirstlane_b32 s82, v2
.LBB2_19:                               ;   in Loop: Header=BB2_17 Depth=1
	s_lshl_b64 s[8:9], s[8:9], 2
	s_add_u32 s8, s44, s8
	s_addc_u32 s9, s89, s9
	global_load_dword v2, v6, s[8:9]
	s_not_b32 s8, s82
	s_waitcnt vmcnt(0)
	v_readfirstlane_b32 s84, v2
	s_add_i32 s86, s8, s84
	s_cmp_lt_i32 s86, 1
	s_cselect_b64 s[64:65], -1, 0
	v_subrev_u32_e32 v55, s82, v2
	s_and_b64 vcc, exec, s[64:65]
	s_cbranch_vccnz .LBB2_24
; %bb.20:                               ;   in Loop: Header=BB2_17 Depth=1
	s_ashr_i32 s83, s82, 31
	s_lshl_b64 s[10:11], s[82:83], 3
	s_add_u32 s8, s38, s10
	s_addc_u32 s9, s39, s11
	s_add_u32 s12, s42, s10
	s_addc_u32 s13, s43, s11
	s_ashr_i32 s85, s84, 31
	s_lshl_b64 s[14:15], s[84:85], 3
	s_add_u32 s22, s16, s14
	s_addc_u32 s23, s45, s15
	s_add_i32 s7, s84, -2
	v_readlane_b32 s58, v64, 12
	s_add_u32 s14, s58, s14
	v_readlane_b32 s58, v64, 13
	s_addc_u32 s15, s58, s15
	global_load_dwordx2 v[20:21], v6, s[8:9]
	global_load_dwordx2 v[2:3], v6, s[12:13]
	;; [unrolled: 1-line block ×4, first 2 shown]
	s_cmp_ge_i32 s82, s7
	s_waitcnt vmcnt(2)
	v_add_f64 v[20:21], |v[20:21]|, |v[2:3]|
	s_waitcnt vmcnt(0)
	v_add_f64 v[22:23], |v[22:23]|, |v[24:25]|
	v_cmp_lt_f64_e32 vcc, v[20:21], v[22:23]
	v_cndmask_b32_e32 v21, v21, v23, vcc
	v_cndmask_b32_e32 v20, v20, v22, vcc
	s_cbranch_scc1 .LBB2_23
; %bb.21:                               ;   in Loop: Header=BB2_17 Depth=1
	v_readlane_b32 s8, v64, 16
	s_add_u32 s8, s8, s10
	v_readlane_b32 s9, v64, 17
	s_addc_u32 s9, s9, s11
	v_readlane_b32 s12, v64, 18
	s_add_u32 s10, s12, s10
	v_readlane_b32 s12, v64, 19
	s_addc_u32 s11, s12, s11
	s_mov_b32 s12, s82
.LBB2_22:                               ;   Parent Loop BB2_17 Depth=1
                                        ; =>  This Inner Loop Header: Depth=2
	global_load_dwordx2 v[22:23], v6, s[10:11]
	s_add_i32 s12, s12, 1
	s_waitcnt vmcnt(0)
	v_add_f64 v[22:23], |v[2:3]|, |v[22:23]|
	global_load_dwordx2 v[2:3], v6, s[8:9]
	s_add_u32 s8, s8, 8
	s_addc_u32 s9, s9, 0
	s_add_u32 s10, s10, 8
	s_addc_u32 s11, s11, 0
	s_cmp_lt_i32 s12, s7
	s_waitcnt vmcnt(0)
	v_add_f64 v[22:23], v[22:23], |v[2:3]|
	v_cmp_lt_f64_e32 vcc, v[20:21], v[22:23]
	v_cndmask_b32_e32 v21, v21, v23, vcc
	v_cndmask_b32_e32 v20, v20, v22, vcc
	s_cbranch_scc1 .LBB2_22
.LBB2_23:                               ;   in Loop: Header=BB2_17 Depth=1
	s_mov_b32 s10, 0x9999999a
	v_cvt_f64_u32_e32 v[2:3], v55
	s_mov_b32 s11, 0x3fb99999
	v_div_scale_f64 v[22:23], s[8:9], v[2:3], v[2:3], s[10:11]
	v_rcp_f64_e32 v[24:25], v[22:23]
	v_div_scale_f64 v[26:27], vcc, s[10:11], v[2:3], s[10:11]
	s_mov_b32 s8, 0
	v_fma_f64 v[28:29], -v[22:23], v[24:25], 1.0
	v_fmac_f64_e32 v[24:25], v[24:25], v[28:29]
	v_fma_f64 v[28:29], -v[22:23], v[24:25], 1.0
	v_fmac_f64_e32 v[24:25], v[24:25], v[28:29]
	v_mul_f64 v[28:29], v[26:27], v[24:25]
	v_fma_f64 v[22:23], -v[22:23], v[28:29], v[26:27]
	v_div_fmas_f64 v[22:23], v[22:23], v[24:25], v[28:29]
	v_div_fixup_f64 v[2:3], v[22:23], v[2:3], s[10:11]
	s_brev_b32 s9, 8
	v_cmp_gt_f64_e32 vcc, s[8:9], v[2:3]
	v_cndmask_b32_e64 v5, 0, 1, vcc
	v_lshlrev_b32_e32 v5, 8, v5
	v_ldexp_f64 v[2:3], v[2:3], v5
	v_rsq_f64_e32 v[24:25], v[2:3]
	s_mov_b32 s8, 0xd2f1a9fc
	s_mov_b32 s9, 0x3f50624d
	v_mul_f64 v[22:23], v[20:21], s[8:9]
	v_mul_f64 v[26:27], v[2:3], v[24:25]
	v_mul_f64 v[24:25], v[24:25], 0.5
	v_fma_f64 v[28:29], -v[24:25], v[26:27], 0.5
	v_fmac_f64_e32 v[26:27], v[26:27], v[28:29]
	v_fma_f64 v[30:31], -v[26:27], v[26:27], v[2:3]
	v_fmac_f64_e32 v[24:25], v[24:25], v[28:29]
	v_fmac_f64_e32 v[26:27], v[30:31], v[24:25]
	v_fma_f64 v[28:29], -v[26:27], v[26:27], v[2:3]
	s_and_b64 s[8:9], vcc, exec
	v_fmac_f64_e32 v[26:27], v[28:29], v[24:25]
	s_cselect_b32 s7, 0xffffff80, 0
	v_ldexp_f64 v[24:25], v[26:27], s7
	v_cmp_class_f64_e32 vcc, v[2:3], v51
	v_cndmask_b32_e32 v25, v25, v3, vcc
	v_cndmask_b32_e32 v24, v24, v2, vcc
	s_mov_b32 s7, s30
.LBB2_24:                               ;   in Loop: Header=BB2_17 Depth=1
	s_cmp_ge_i32 s30, s60
	s_cbranch_scc1 .LBB2_16
; %bb.25:                               ;   in Loop: Header=BB2_17 Depth=1
	s_mul_i32 s8, s80, s60
	v_writelane_b32 v64, s8, 39
	v_cmp_gt_i32_e64 s[10:11], s86, v0
	s_ashr_i32 s85, s84, 31
	v_writelane_b32 v64, s10, 40
	s_lshl_b64 s[12:13], s[84:85], 3
	v_writelane_b32 v64, s11, 41
	s_add_u32 s10, s16, s12
	s_addc_u32 s11, s45, s13
	v_writelane_b32 v64, s10, 42
	v_writelane_b32 v64, s11, 43
	v_readlane_b32 s10, v64, 22
	s_add_i32 s12, s86, s10
	s_ashr_i32 s13, s12, 31
	s_lshl_b64 s[12:13], s[12:13], 3
	s_add_u32 s92, s36, s12
	s_mov_b32 s87, s17
	s_addc_u32 s93, s37, s13
	s_lshl_b64 s[12:13], s[86:87], 2
	v_cvt_f64_u32_e32 v[2:3], v55
	s_add_u32 s94, s74, s12
	v_mul_f64 v[26:27], v[20:21], v[2:3]
	v_add_u32_e32 v2, s82, v0
	s_addc_u32 s95, s75, s13
	s_add_i32 s85, s86, -1
	s_lshl_b64 s[12:13], s[86:87], 3
	v_ashrrev_i32_e32 v3, 31, v2
	v_readlane_b32 s11, v64, 23
	s_add_u32 s10, s40, s12
	v_lshlrev_b64 v[2:3], 3, v[2:3]
	s_addc_u32 s11, s41, s13
	v_mov_b32_e32 v4, s39
	v_add_co_u32_e32 v28, vcc, s38, v2
	s_cmp_lg_u32 s86, 1
	v_addc_co_u32_e32 v29, vcc, v4, v3, vcc
	s_cselect_b64 s[70:71], -1, 0
	v_mov_b32_e32 v4, s43
	v_add_co_u32_e32 v30, vcc, s42, v2
	s_ashr_i32 s83, s82, 31
	v_writelane_b32 v64, s10, 44
	v_addc_co_u32_e32 v31, vcc, v4, v3, vcc
	s_lshl_b64 s[12:13], s[82:83], 3
	v_writelane_b32 v64, s11, 45
	v_mov_b32_e32 v2, s13
	v_subrev_co_u32_e32 v32, vcc, s12, v8
	v_cmp_ge_i32_e64 s[8:9], s86, v0
	s_sub_i32 s87, s84, s82
	v_subb_co_u32_e32 v33, vcc, v9, v2, vcc
	s_mul_i32 s83, s53, s30
	s_mov_b32 s81, 0
	v_pk_mov_b32 v[2:3], v[18:19], v[18:19] op_sel:[0,1]
	s_mov_b32 s44, s30
	v_writelane_b32 v64, s64, 46
	v_writelane_b32 v64, s65, 47
	s_branch .LBB2_27
.LBB2_26:                               ;   in Loop: Header=BB2_27 Depth=2
	s_or_b64 exec, exec, s[14:15]
	s_add_i32 s81, s81, 1
	s_add_i32 s44, s44, 1
	;; [unrolled: 1-line block ×3, first 2 shown]
	s_cmp_ge_i32 s44, s60
	s_cselect_b64 s[12:13], -1, 0
	s_mov_b32 s14, s30
	s_waitcnt vmcnt(0)
	v_pk_mov_b32 v[2:3], v[18:19], v[18:19] op_sel:[0,1]
	s_barrier
	s_and_b64 vcc, exec, s[12:13]
	s_cbranch_vccnz .LBB2_15
.LBB2_27:                               ;   Parent Loop BB2_17 Depth=1
                                        ; =>  This Loop Header: Depth=2
                                        ;       Child Loop BB2_38 Depth 3
                                        ;       Child Loop BB2_41 Depth 3
	;; [unrolled: 1-line block ×5, first 2 shown]
                                        ;         Child Loop BB2_110 Depth 4
                                        ;         Child Loop BB2_113 Depth 4
	;; [unrolled: 1-line block ×4, first 2 shown]
                                        ;           Child Loop BB2_130 Depth 5
                                        ;         Child Loop BB2_142 Depth 4
                                        ;           Child Loop BB2_143 Depth 5
                                        ;           Child Loop BB2_145 Depth 5
                                        ;         Child Loop BB2_150 Depth 4
                                        ;       Child Loop BB2_191 Depth 3
                                        ;       Child Loop BB2_228 Depth 3
	;; [unrolled: 1-line block ×4, first 2 shown]
	s_ashr_i32 s45, s44, 31
	s_lshl_b64 s[12:13], s[44:45], 2
	s_add_u32 s12, s33, s12
	s_addc_u32 s13, s28, s13
	global_load_dword v4, v6, s[12:13]
	s_waitcnt vmcnt(0)
	v_add_u32_e32 v4, -1, v4
	v_cmp_ne_u32_e32 vcc, s80, v4
	s_cbranch_vccnz .LBB2_32
; %bb.28:                               ;   in Loop: Header=BB2_27 Depth=2
	s_lshl_b64 s[12:13], s[44:45], 3
	s_add_u32 s12, s61, s12
	s_addc_u32 s13, s88, s13
	global_load_dwordx2 v[18:19], v6, s[12:13]
	s_and_b64 vcc, exec, s[64:65]
	s_cbranch_vccz .LBB2_33
; %bb.29:                               ;   in Loop: Header=BB2_27 Depth=2
	s_and_saveexec_b64 s[12:13], s[0:1]
	s_cbranch_execz .LBB2_31
; %bb.30:                               ;   in Loop: Header=BB2_27 Depth=2
	v_mov_b32_e32 v7, v53
	global_store_dwordx2 v6, v[6:7], s[36:37]
.LBB2_31:                               ;   in Loop: Header=BB2_27 Depth=2
	s_or_b64 exec, exec, s[12:13]
	s_barrier
	s_branch .LBB2_242
.LBB2_32:                               ;   in Loop: Header=BB2_27 Depth=2
                                        ; implicit-def: $sgpr81
                                        ; implicit-def: $sgpr83
	s_mov_b32 s14, s44
	v_pk_mov_b32 v[18:19], v[2:3], v[2:3] op_sel:[0,1]
	s_cbranch_execz .LBB2_27
	s_branch .LBB2_15
.LBB2_33:                               ;   in Loop: Header=BB2_27 Depth=2
	s_cbranch_execz .LBB2_242
; %bb.34:                               ;   in Loop: Header=BB2_27 Depth=2
	v_readlane_b32 s10, v64, 39
	s_add_i32 s12, s44, s10
	v_lshl_or_b32 v4, s12, 8, v0
	v_add_u32_e32 v5, 1, v4
	s_mov_b32 s10, 0x40000001
	v_mul_hi_i32 v7, v5, s10
	v_lshrrev_b32_e32 v34, 31, v7
	v_ashrrev_i32_e32 v7, 29, v7
	v_add_u32_e32 v7, v7, v34
	v_mul_lo_u32 v7, v7, s51
	v_sub_u32_e32 v5, v5, v7
	v_max_i32_e32 v7, 1, v5
	s_mov_b32 s10, 0x7ffffffe
	v_cmp_ne_u32_e32 vcc, s10, v4
	v_mov_b32_e32 v34, v7
	s_and_saveexec_b64 s[12:13], vcc
; %bb.35:                               ;   in Loop: Header=BB2_27 Depth=2
	v_sub_u32_e32 v4, 0x7ffffffe, v4
	s_mov_b32 s10, 0x4000007d
	v_mul_hi_i32 v5, v4, s10
	v_lshrrev_b32_e32 v34, 31, v5
	v_ashrrev_i32_e32 v5, 29, v5
	v_add_u32_e32 v5, v5, v34
	s_mov_b32 s10, 0x7fffff07
	v_mul_lo_u32 v5, v5, s10
	v_sub_u32_e32 v4, v4, v5
	v_max_i32_e32 v34, 1, v4
; %bb.36:                               ;   in Loop: Header=BB2_27 Depth=2
	s_or_b64 exec, exec, s[12:13]
	s_and_saveexec_b64 s[12:13], s[8:9]
	s_cbranch_execz .LBB2_39
; %bb.37:                               ;   in Loop: Header=BB2_27 Depth=2
	s_mov_b64 s[14:15], 0
	v_pk_mov_b32 v[4:5], v[8:9], v[8:9] op_sel:[0,1]
	v_mov_b32_e32 v35, v0
.LBB2_38:                               ;   Parent Loop BB2_17 Depth=1
                                        ;     Parent Loop BB2_27 Depth=2
                                        ; =>    This Inner Loop Header: Depth=3
	v_mul_hi_i32 v36, v7, s78
	v_mul_hi_i32 v37, v34, s35
	v_lshrrev_b32_e32 v38, 31, v36
	v_ashrrev_i32_e32 v36, 14, v36
	v_lshrrev_b32_e32 v39, 31, v37
	v_ashrrev_i32_e32 v37, 14, v37
	v_add_u32_e32 v36, v36, v38
	v_add_u32_e32 v37, v37, v39
	v_mul_i32_i24_e32 v38, 0xadc8, v36
	v_mul_i32_i24_e32 v39, 0xce26, v37
	v_sub_u32_e32 v7, v7, v38
	v_sub_u32_e32 v34, v34, v39
	v_mul_lo_u32 v7, v7, s79
	v_mul_lo_u32 v34, v34, s31
	v_mad_i32_i24 v7, v36, s34, v7
	v_mad_i32_i24 v34, v37, s29, v34
	v_ashrrev_i32_e32 v36, 31, v7
	v_ashrrev_i32_e32 v37, 31, v34
	v_and_b32_e32 v36, 0x7fffffff, v36
	v_and_b32_e32 v37, 0x7fffff07, v37
	v_add_u32_e32 v7, v36, v7
	v_add_u32_e32 v34, v37, v34
	v_sub_u32_e32 v36, v7, v34
	v_ashrrev_i32_e32 v37, 31, v36
	v_and_b32_e32 v37, 0x7fffffff, v37
	v_add_u32_e32 v36, v37, v36
	v_cvt_f64_i32_e32 v[36:37], v36
	v_div_scale_f64 v[38:39], s[22:23], s[76:77], s[76:77], v[36:37]
	v_rcp_f64_e32 v[42:43], v[38:39]
	v_add_u32_e32 v35, 0x100, v35
	v_cmp_lt_i32_e32 vcc, s86, v35
	s_or_b64 s[14:15], vcc, s[14:15]
	v_fma_f64 v[44:45], -v[38:39], v[42:43], 1.0
	v_fmac_f64_e32 v[42:43], v[42:43], v[44:45]
	v_fma_f64 v[44:45], -v[38:39], v[42:43], 1.0
	v_div_scale_f64 v[40:41], vcc, v[36:37], s[76:77], v[36:37]
	v_fmac_f64_e32 v[42:43], v[42:43], v[44:45]
	v_mul_f64 v[44:45], v[40:41], v[42:43]
	v_fma_f64 v[38:39], -v[38:39], v[44:45], v[40:41]
	s_nop 0
	v_div_fmas_f64 v[38:39], v[38:39], v[42:43], v[44:45]
	v_div_fixup_f64 v[36:37], v[38:39], s[76:77], v[36:37]
	global_store_dwordx2 v[4:5], v[36:37], off
	v_add_co_u32_e32 v4, vcc, 0x800, v4
	v_addc_co_u32_e32 v5, vcc, 0, v5, vcc
	s_andn2_b64 exec, exec, s[14:15]
	s_cbranch_execnz .LBB2_38
.LBB2_39:                               ;   in Loop: Header=BB2_27 Depth=2
	s_or_b64 exec, exec, s[12:13]
	v_readlane_b32 s10, v64, 40
	v_readlane_b32 s11, v64, 41
	s_and_saveexec_b64 s[22:23], s[10:11]
	s_cbranch_execz .LBB2_42
; %bb.40:                               ;   in Loop: Header=BB2_27 Depth=2
	s_mov_b64 s[38:39], 0
	v_pk_mov_b32 v[4:5], v[30:31], v[30:31] op_sel:[0,1]
	v_pk_mov_b32 v[34:35], v[28:29], v[28:29] op_sel:[0,1]
	;; [unrolled: 1-line block ×4, first 2 shown]
	v_mov_b32_e32 v7, v0
.LBB2_41:                               ;   Parent Loop BB2_17 Depth=1
                                        ;     Parent Loop BB2_27 Depth=2
                                        ; =>    This Inner Loop Header: Depth=3
	global_load_dwordx2 v[40:41], v[34:35], off
	v_add_u32_e32 v42, s57, v7
	v_add_u32_e32 v7, 0x100, v7
	v_ashrrev_i32_e32 v43, 31, v42
	v_cmp_le_i32_e32 vcc, s86, v7
	v_lshlrev_b64 v[42:43], 3, v[42:43]
	v_mov_b32_e32 v44, s37
	s_or_b64 s[38:39], vcc, s[38:39]
	v_add_co_u32_e32 v42, vcc, s36, v42
	v_addc_co_u32_e32 v43, vcc, v44, v43, vcc
	s_waitcnt vmcnt(0)
	global_store_dwordx2 v[38:39], v[40:41], off
	global_load_dwordx2 v[40:41], v[4:5], off
	v_add_co_u32_e32 v38, vcc, s6, v38
	v_addc_co_u32_e32 v39, vcc, 0, v39, vcc
	s_waitcnt vmcnt(0)
	global_store_dwordx2 v[42:43], v[40:41], off
	global_store_dwordx2 v[36:37], v[40:41], off
	v_add_co_u32_e32 v36, vcc, s6, v36
	s_mov_b64 s[12:13], vcc
	v_add_co_u32_e32 v34, vcc, 0x800, v34
	s_mov_b64 s[14:15], vcc
	v_addc_co_u32_e64 v37, vcc, 0, v37, s[12:13]
	v_add_co_u32_e32 v4, vcc, 0x800, v4
	v_addc_co_u32_e64 v35, s[12:13], 0, v35, s[14:15]
	v_addc_co_u32_e32 v5, vcc, 0, v5, vcc
	s_andn2_b64 exec, exec, s[38:39]
	s_cbranch_execnz .LBB2_41
.LBB2_42:                               ;   in Loop: Header=BB2_27 Depth=2
	s_or_b64 exec, exec, s[22:23]
	s_and_saveexec_b64 s[12:13], s[0:1]
	s_cbranch_execz .LBB2_44
; %bb.43:                               ;   in Loop: Header=BB2_27 Depth=2
	v_readlane_b32 s10, v64, 42
	v_readlane_b32 s11, v64, 43
	s_nop 4
	global_load_dwordx2 v[4:5], v6, s[10:11]
	s_waitcnt vmcnt(0)
	global_store_dwordx2 v6, v[4:5], s[92:93]
.LBB2_44:                               ;   in Loop: Header=BB2_27 Depth=2
	s_mov_b32 s11, s61
	s_mov_b32 s10, s60
	s_or_b64 exec, exec, s[12:13]
	s_mov_b32 s12, 0
	s_waitcnt vmcnt(0)
	v_mul_f64 v[4:5], v[18:19], s[24:25]
	s_mov_b32 s13, 0x40240000
	s_cmp_lg_u32 s81, 0
	v_mul_f64 v[34:35], |v[4:5]|, s[12:13]
	v_add_f64 v[36:37], v[18:19], -v[2:3]
	s_cselect_b64 s[38:39], -1, 0
	v_fma_f64 v[4:5], |v[4:5]|, s[12:13], v[2:3]
	v_cmp_lt_f64_e32 vcc, v[36:37], v[34:35]
	s_cmp_eq_u32 s81, 0
	v_cndmask_b32_e32 v4, v18, v4, vcc
	v_cndmask_b32_e32 v5, v19, v5, vcc
	s_cselect_b64 vcc, -1, 0
	v_cndmask_b32_e32 v19, v5, v19, vcc
	v_cndmask_b32_e32 v18, v4, v18, vcc
	s_barrier
	s_and_saveexec_b64 s[12:13], s[0:1]
	s_cbranch_execz .LBB2_71
; %bb.45:                               ;   in Loop: Header=BB2_27 Depth=2
	global_load_dwordx2 v[4:5], v6, s[40:41]
	v_readlane_b32 s14, v64, 6
	v_readlane_b32 s15, v64, 7
	;; [unrolled: 1-line block ×5, first 2 shown]
	s_mov_b32 s16, 1
	v_readlane_b32 s73, v64, 27
	s_mov_b64 s[22:23], s[74:75]
	v_readlane_b32 s61, v64, 25
	v_readlane_b32 s59, v64, 21
	global_store_dword v6, v6, s[94:95]
	s_waitcnt vmcnt(1)
	v_add_f64 v[4:5], v[4:5], -v[18:19]
	global_store_dwordx2 v6, v[4:5], s[40:41]
	global_load_dwordx2 v[34:35], v6, s[14:15] offset:8
	v_readlane_b32 s14, v64, 28
	v_readlane_b32 s15, v64, 29
	s_waitcnt vmcnt(0)
	v_add_f64 v[4:5], |v[4:5]|, |v[34:35]|
	s_branch .LBB2_47
.LBB2_46:                               ;   in Loop: Header=BB2_47 Depth=3
	s_add_u32 s58, s58, 8
	s_addc_u32 s59, s59, 0
	s_add_u32 s60, s60, 8
	s_addc_u32 s61, s61, 0
	;; [unrolled: 2-line block ×4, first 2 shown]
	s_add_i32 s16, s16, 1
	s_add_u32 s14, s14, 8
	s_addc_u32 s15, s15, 0
	s_cmp_eq_u32 s87, s16
	s_cbranch_scc1 .LBB2_68
.LBB2_47:                               ;   Parent Loop BB2_17 Depth=1
                                        ;     Parent Loop BB2_27 Depth=2
                                        ; =>    This Inner Loop Header: Depth=3
	s_add_i32 s45, s16, -1
	s_add_u32 s64, s20, s14
	s_addc_u32 s65, s21, s15
	global_load_dwordx2 v[34:35], v6, s[64:65]
	s_add_u32 s62, s20, s72
	s_addc_u32 s63, s21, s73
	s_cmp_lt_i32 s45, s85
	s_cselect_b64 s[42:43], -1, 0
	s_cmp_ge_i32 s45, s85
	s_waitcnt vmcnt(0)
	v_add_f64 v[38:39], v[34:35], -v[18:19]
	global_store_dwordx2 v6, v[38:39], s[64:65]
	global_load_dwordx2 v[40:41], v6, s[62:63]
	s_waitcnt vmcnt(0)
	v_add_f64 v[34:35], |v[38:39]|, |v[40:41]|
	s_cbranch_scc1 .LBB2_49
; %bb.48:                               ;   in Loop: Header=BB2_47 Depth=3
	s_add_u32 s90, s20, s58
	s_addc_u32 s91, s21, s59
	global_load_dwordx2 v[36:37], v6, s[90:91] offset:16
	s_waitcnt vmcnt(0)
	v_add_f64 v[34:35], v[34:35], |v[36:37]|
.LBB2_49:                               ;   in Loop: Header=BB2_47 Depth=3
	global_load_dwordx2 v[44:45], v6, s[64:65] offset:-8
	v_pk_mov_b32 v[36:37], 0, 0
	s_waitcnt vmcnt(0)
	v_cmp_eq_f64_e32 vcc, 0, v[44:45]
	s_cbranch_vccnz .LBB2_51
; %bb.50:                               ;   in Loop: Header=BB2_47 Depth=3
	v_and_b32_e32 v37, 0x7fffffff, v45
	v_mov_b32_e32 v36, v44
	v_div_scale_f64 v[42:43], s[90:91], v[4:5], v[4:5], v[36:37]
	v_rcp_f64_e32 v[46:47], v[42:43]
	v_div_scale_f64 v[36:37], vcc, v[36:37], v[4:5], v[36:37]
	v_fma_f64 v[56:57], -v[42:43], v[46:47], 1.0
	v_fmac_f64_e32 v[46:47], v[46:47], v[56:57]
	v_fma_f64 v[56:57], -v[42:43], v[46:47], 1.0
	v_fmac_f64_e32 v[46:47], v[46:47], v[56:57]
	v_mul_f64 v[56:57], v[36:37], v[46:47]
	v_fma_f64 v[36:37], -v[42:43], v[56:57], v[36:37]
	v_div_fmas_f64 v[36:37], v[36:37], v[46:47], v[56:57]
	v_div_fixup_f64 v[36:37], v[36:37], v[4:5], |v[44:45]|
.LBB2_51:                               ;   in Loop: Header=BB2_47 Depth=3
	v_cmp_neq_f64_e32 vcc, 0, v[40:41]
	s_cbranch_vccz .LBB2_56
; %bb.52:                               ;   in Loop: Header=BB2_47 Depth=3
	v_and_b32_e32 v43, 0x7fffffff, v41
	v_mov_b32_e32 v42, v40
	v_div_scale_f64 v[46:47], s[90:91], v[34:35], v[34:35], v[42:43]
	v_rcp_f64_e32 v[56:57], v[46:47]
	v_div_scale_f64 v[42:43], vcc, v[42:43], v[34:35], v[42:43]
	v_fma_f64 v[58:59], -v[46:47], v[56:57], 1.0
	v_fmac_f64_e32 v[56:57], v[56:57], v[58:59]
	v_fma_f64 v[58:59], -v[46:47], v[56:57], 1.0
	v_fmac_f64_e32 v[56:57], v[56:57], v[58:59]
	v_mul_f64 v[58:59], v[42:43], v[56:57]
	v_fma_f64 v[42:43], -v[46:47], v[58:59], v[42:43]
	v_div_fmas_f64 v[42:43], v[42:43], v[56:57], v[58:59]
	v_div_fixup_f64 v[42:43], v[42:43], v[34:35], |v[40:41]|
	v_cmp_nle_f64_e32 vcc, v[42:43], v[36:37]
	s_cbranch_vccnz .LBB2_57
; %bb.53:                               ;   in Loop: Header=BB2_47 Depth=3
	v_div_scale_f64 v[46:47], s[90:91], v[44:45], v[44:45], v[40:41]
	v_rcp_f64_e32 v[56:57], v[46:47]
	v_div_scale_f64 v[58:59], vcc, v[40:41], v[44:45], v[40:41]
	s_add_u32 s90, s20, s58
	v_fma_f64 v[60:61], -v[46:47], v[56:57], 1.0
	v_fmac_f64_e32 v[56:57], v[56:57], v[60:61]
	v_fma_f64 v[60:61], -v[46:47], v[56:57], 1.0
	v_fmac_f64_e32 v[56:57], v[56:57], v[60:61]
	v_mul_f64 v[60:61], v[58:59], v[56:57]
	v_fma_f64 v[46:47], -v[46:47], v[60:61], v[58:59]
	v_div_fmas_f64 v[46:47], v[46:47], v[56:57], v[60:61]
	v_div_fixup_f64 v[46:47], v[46:47], v[44:45], v[40:41]
	global_store_dwordx2 v6, v[46:47], s[62:63]
	s_addc_u32 s91, s21, s59
	global_load_dwordx2 v[56:57], v6, s[64:65]
	global_load_dwordx2 v[58:59], v6, s[90:91] offset:8
	s_andn2_b64 vcc, exec, s[42:43]
	global_store_dword v6, v6, s[22:23]
	s_waitcnt vmcnt(1)
	v_fma_f64 v[46:47], -v[46:47], v[58:59], v[56:57]
	global_store_dwordx2 v6, v[46:47], s[64:65]
	s_cbranch_vccnz .LBB2_55
; %bb.54:                               ;   in Loop: Header=BB2_47 Depth=3
	s_add_u32 s90, s20, s60
	s_addc_u32 s91, s21, s61
	v_mov_b32_e32 v7, v6
	global_store_dwordx2 v6, v[6:7], s[90:91]
.LBB2_55:                               ;   in Loop: Header=BB2_47 Depth=3
	v_pk_mov_b32 v[46:47], v[34:35], v[34:35] op_sel:[0,1]
	s_cbranch_execz .LBB2_58
	s_branch .LBB2_61
.LBB2_56:                               ;   in Loop: Header=BB2_47 Depth=3
                                        ; implicit-def: $vgpr42_vgpr43
                                        ; implicit-def: $vgpr4_vgpr5
	s_branch .LBB2_62
.LBB2_57:                               ;   in Loop: Header=BB2_47 Depth=3
	v_pk_mov_b32 v[46:47], v[34:35], v[34:35] op_sel:[0,1]
.LBB2_58:                               ;   in Loop: Header=BB2_47 Depth=3
	s_add_u32 s90, s20, s58
	global_store_dwordx2 v6, v[40:41], s[64:65] offset:-8
	s_addc_u32 s91, s21, s59
	global_load_dwordx2 v[46:47], v6, s[90:91] offset:8
	v_div_scale_f64 v[56:57], vcc, v[40:41], v[40:41], v[44:45]
	v_rcp_f64_e32 v[58:59], v[56:57]
	v_div_scale_f64 v[60:61], vcc, v[44:45], v[40:41], v[44:45]
	global_store_dword v6, v52, s[22:23]
	v_fma_f64 v[62:63], -v[56:57], v[58:59], 1.0
	v_fmac_f64_e32 v[58:59], v[58:59], v[62:63]
	v_fma_f64 v[62:63], -v[56:57], v[58:59], 1.0
	v_fmac_f64_e32 v[58:59], v[58:59], v[62:63]
	v_mul_f64 v[62:63], v[60:61], v[58:59]
	v_fma_f64 v[56:57], -v[56:57], v[62:63], v[60:61]
	v_div_fmas_f64 v[56:57], v[56:57], v[58:59], v[62:63]
	v_div_fixup_f64 v[40:41], v[56:57], v[40:41], v[44:45]
	s_andn2_b64 vcc, exec, s[42:43]
	s_waitcnt vmcnt(1)
	v_fma_f64 v[44:45], -v[38:39], v[40:41], v[46:47]
	global_store_dwordx2 v6, v[44:45], s[64:65]
	s_cbranch_vccnz .LBB2_60
; %bb.59:                               ;   in Loop: Header=BB2_47 Depth=3
	global_load_dwordx2 v[44:45], v6, s[90:91] offset:16
	s_add_u32 s64, s20, s60
	s_addc_u32 s65, s21, s61
	s_waitcnt vmcnt(0)
	global_store_dwordx2 v6, v[44:45], s[64:65]
	v_mul_f64 v[44:45], v[44:45], -v[40:41]
	global_store_dwordx2 v6, v[44:45], s[90:91] offset:16
.LBB2_60:                               ;   in Loop: Header=BB2_47 Depth=3
	v_pk_mov_b32 v[46:47], v[4:5], v[4:5] op_sel:[0,1]
	global_store_dwordx2 v6, v[38:39], s[90:91] offset:8
	global_store_dwordx2 v6, v[40:41], s[62:63]
.LBB2_61:                               ;   in Loop: Header=BB2_47 Depth=3
	v_pk_mov_b32 v[4:5], v[46:47], v[46:47] op_sel:[0,1]
	s_cbranch_execnz .LBB2_65
.LBB2_62:                               ;   in Loop: Header=BB2_47 Depth=3
	s_andn2_b64 vcc, exec, s[42:43]
	global_store_dword v6, v6, s[22:23]
	s_cbranch_vccnz .LBB2_64
; %bb.63:                               ;   in Loop: Header=BB2_47 Depth=3
	s_add_u32 s42, s20, s60
	s_addc_u32 s43, s21, s61
	v_mov_b32_e32 v7, v6
	global_store_dwordx2 v6, v[6:7], s[42:43]
.LBB2_64:                               ;   in Loop: Header=BB2_47 Depth=3
	v_pk_mov_b32 v[42:43], 0, 0
	v_pk_mov_b32 v[4:5], v[34:35], v[34:35] op_sel:[0,1]
.LBB2_65:                               ;   in Loop: Header=BB2_47 Depth=3
	v_max_f64 v[34:35], v[42:43], v[42:43]
	v_max_f64 v[36:37], v[36:37], v[36:37]
	;; [unrolled: 1-line block ×3, first 2 shown]
	v_cmp_nle_f64_e32 vcc, v[34:35], v[14:15]
	s_cbranch_vccnz .LBB2_46
; %bb.66:                               ;   in Loop: Header=BB2_47 Depth=3
	global_load_dword v7, v6, s[94:95]
	s_waitcnt vmcnt(0)
	v_cmp_ne_u32_e32 vcc, 0, v7
	s_cbranch_vccnz .LBB2_46
; %bb.67:                               ;   in Loop: Header=BB2_47 Depth=3
	v_mov_b32_e32 v7, s16
	global_store_dword v6, v7, s[94:95]
	s_branch .LBB2_46
.LBB2_68:                               ;   in Loop: Header=BB2_27 Depth=2
	v_readlane_b32 s14, v64, 44
	v_readlane_b32 s15, v64, 45
	v_mul_f64 v[4:5], v[14:15], v[4:5]
	s_nop 3
	global_load_dwordx2 v[34:35], v6, s[14:15]
	s_waitcnt vmcnt(0)
	v_cmp_le_f64_e64 s[14:15], |v[34:35]|, v[4:5]
	s_and_b64 vcc, exec, s[14:15]
	s_cbranch_vccz .LBB2_71
; %bb.69:                               ;   in Loop: Header=BB2_27 Depth=2
	global_load_dword v4, v6, s[94:95]
	s_waitcnt vmcnt(0)
	v_cmp_ne_u32_e32 vcc, 0, v4
	s_cbranch_vccnz .LBB2_71
; %bb.70:                               ;   in Loop: Header=BB2_27 Depth=2
	global_store_dword v6, v55, s[94:95]
.LBB2_71:                               ;   in Loop: Header=BB2_27 Depth=2
	s_or_b64 exec, exec, s[12:13]
	v_add_f64 v[2:3], v[18:19], -v[2:3]
	v_cmp_gt_f64_e64 s[72:73], |v[2:3]|, v[22:23]
	s_mov_b32 s45, 0
	s_mov_b32 s60, 0
	v_bfrev_b32_e32 v7, -2
	v_pk_mov_b32 v[2:3], 0, 0
	s_and_saveexec_b64 s[22:23], s[8:9]
	s_cbranch_execz .LBB2_75
.LBB2_72:                               ;   in Loop: Header=BB2_27 Depth=2
	s_mov_b64 s[42:43], 0
	v_bfrev_b32_e32 v7, -2
	v_pk_mov_b32 v[2:3], 0, 0
	v_pk_mov_b32 v[4:5], v[8:9], v[8:9] op_sel:[0,1]
	v_mov_b32_e32 v34, v0
.LBB2_73:                               ;   Parent Loop BB2_17 Depth=1
                                        ;     Parent Loop BB2_27 Depth=2
                                        ; =>    This Inner Loop Header: Depth=3
	global_load_dwordx2 v[36:37], v[4:5], off
	v_add_co_u32_e32 v4, vcc, 0x800, v4
	v_cmp_eq_u32_e64 s[12:13], s51, v7
	v_add_u32_e32 v35, 1, v34
	v_add_u32_e32 v34, 0x100, v34
	v_addc_co_u32_e32 v5, vcc, 0, v5, vcc
	v_cmp_lt_i32_e64 s[14:15], s86, v34
	s_waitcnt vmcnt(0)
	v_cmp_lt_f64_e64 s[58:59], v[2:3], |v[36:37]|
	v_and_b32_e32 v38, 0x7fffffff, v37
	s_or_b64 vcc, s[58:59], s[12:13]
	v_cndmask_b32_e32 v3, v3, v38, vcc
	v_cndmask_b32_e32 v2, v2, v36, vcc
	s_or_b64 s[42:43], s[14:15], s[42:43]
	v_cndmask_b32_e32 v7, v7, v35, vcc
	s_andn2_b64 exec, exec, s[42:43]
	s_cbranch_execnz .LBB2_73
; %bb.74:                               ;   in Loop: Header=BB2_27 Depth=2
	s_or_b64 exec, exec, s[42:43]
.LBB2_75:                               ;   Parent Loop BB2_17 Depth=1
                                        ;     Parent Loop BB2_27 Depth=2
                                        ; =>    This Loop Header: Depth=3
                                        ;         Child Loop BB2_110 Depth 4
                                        ;         Child Loop BB2_113 Depth 4
	;; [unrolled: 1-line block ×4, first 2 shown]
                                        ;           Child Loop BB2_130 Depth 5
                                        ;         Child Loop BB2_142 Depth 4
                                        ;           Child Loop BB2_143 Depth 5
                                        ;           Child Loop BB2_145 Depth 5
                                        ;         Child Loop BB2_150 Depth 4
	s_or_b64 exec, exec, s[22:23]
	ds_write_b64 v49, v[2:3]
	ds_write_b32 v50, v7 offset:4096
	s_waitcnt lgkmcnt(0)
	s_barrier
	s_and_saveexec_b64 s[14:15], s[2:3]
	s_cbranch_execz .LBB2_81
; %bb.76:                               ;   in Loop: Header=BB2_75 Depth=3
	v_add_u32_e32 v4, v50, v1
	ds_read_b64 v[4:5], v4 offset:1024
	ds_read_b32 v34, v48 offset:512
	s_waitcnt lgkmcnt(1)
	v_cmp_lt_f64_e64 s[22:23], v[2:3], v[4:5]
	v_cmp_nlt_f64_e32 vcc, v[2:3], v[4:5]
	s_and_saveexec_b64 s[42:43], vcc
	s_cbranch_execz .LBB2_78
; %bb.77:                               ;   in Loop: Header=BB2_75 Depth=3
	v_cmp_eq_f64_e32 vcc, v[2:3], v[4:5]
	s_waitcnt lgkmcnt(0)
	v_cmp_gt_i32_e64 s[12:13], v7, v34
	s_and_b64 s[12:13], vcc, s[12:13]
	s_andn2_b64 s[22:23], s[22:23], exec
	s_and_b64 s[12:13], s[12:13], exec
	s_or_b64 s[22:23], s[22:23], s[12:13]
.LBB2_78:                               ;   in Loop: Header=BB2_75 Depth=3
	s_or_b64 exec, exec, s[42:43]
	s_and_saveexec_b64 s[12:13], s[22:23]
	s_cbranch_execz .LBB2_80
; %bb.79:                               ;   in Loop: Header=BB2_75 Depth=3
	s_waitcnt lgkmcnt(0)
	v_mov_b32_e32 v7, v34
	v_pk_mov_b32 v[2:3], v[4:5], v[4:5] op_sel:[0,1]
	ds_write_b64 v49, v[4:5]
	ds_write_b32 v50, v34 offset:4096
.LBB2_80:                               ;   in Loop: Header=BB2_75 Depth=3
	s_or_b64 exec, exec, s[12:13]
.LBB2_81:                               ;   in Loop: Header=BB2_75 Depth=3
	s_or_b64 exec, exec, s[14:15]
	s_waitcnt lgkmcnt(0)
	s_barrier
	s_and_saveexec_b64 s[22:23], s[4:5]
	s_cbranch_execz .LBB2_108
; %bb.82:                               ;   in Loop: Header=BB2_75 Depth=3
	v_add_u32_e32 v34, v50, v1
	ds_read_b64 v[4:5], v34 offset:512
	ds_read_b32 v35, v48 offset:256
	s_waitcnt lgkmcnt(1)
	v_cmp_lt_f64_e64 s[14:15], v[2:3], v[4:5]
	v_cmp_nlt_f64_e32 vcc, v[2:3], v[4:5]
	s_and_saveexec_b64 s[42:43], vcc
	s_cbranch_execz .LBB2_84
; %bb.83:                               ;   in Loop: Header=BB2_75 Depth=3
	v_cmp_eq_f64_e32 vcc, v[2:3], v[4:5]
	s_waitcnt lgkmcnt(0)
	v_cmp_gt_i32_e64 s[12:13], v7, v35
	s_and_b64 s[12:13], vcc, s[12:13]
	s_andn2_b64 s[14:15], s[14:15], exec
	s_and_b64 s[12:13], s[12:13], exec
	s_or_b64 s[14:15], s[14:15], s[12:13]
.LBB2_84:                               ;   in Loop: Header=BB2_75 Depth=3
	s_or_b64 exec, exec, s[42:43]
	s_and_saveexec_b64 s[12:13], s[14:15]
	s_cbranch_execz .LBB2_86
; %bb.85:                               ;   in Loop: Header=BB2_75 Depth=3
	v_pk_mov_b32 v[2:3], v[4:5], v[4:5] op_sel:[0,1]
	s_waitcnt lgkmcnt(0)
	v_mov_b32_e32 v7, v35
	ds_write_b64 v49, v[4:5]
	ds_write_b32 v50, v35 offset:4096
.LBB2_86:                               ;   in Loop: Header=BB2_75 Depth=3
	s_or_b64 exec, exec, s[12:13]
	ds_read_b64 v[4:5], v34 offset:256
	s_waitcnt lgkmcnt(1)
	ds_read_b32 v35, v48 offset:128
	s_waitcnt lgkmcnt(1)
	v_cmp_lt_f64_e64 s[14:15], v[2:3], v[4:5]
	v_cmp_nlt_f64_e32 vcc, v[2:3], v[4:5]
	s_and_saveexec_b64 s[42:43], vcc
	s_cbranch_execz .LBB2_88
; %bb.87:                               ;   in Loop: Header=BB2_75 Depth=3
	v_cmp_eq_f64_e32 vcc, v[2:3], v[4:5]
	s_waitcnt lgkmcnt(0)
	v_cmp_gt_i32_e64 s[12:13], v7, v35
	s_and_b64 s[12:13], vcc, s[12:13]
	s_andn2_b64 s[14:15], s[14:15], exec
	s_and_b64 s[12:13], s[12:13], exec
	s_or_b64 s[14:15], s[14:15], s[12:13]
.LBB2_88:                               ;   in Loop: Header=BB2_75 Depth=3
	s_or_b64 exec, exec, s[42:43]
	s_and_saveexec_b64 s[12:13], s[14:15]
	s_cbranch_execz .LBB2_90
; %bb.89:                               ;   in Loop: Header=BB2_75 Depth=3
	v_pk_mov_b32 v[2:3], v[4:5], v[4:5] op_sel:[0,1]
	s_waitcnt lgkmcnt(0)
	v_mov_b32_e32 v7, v35
	ds_write_b64 v49, v[4:5]
	ds_write_b32 v50, v35 offset:4096
.LBB2_90:                               ;   in Loop: Header=BB2_75 Depth=3
	s_or_b64 exec, exec, s[12:13]
	ds_read_b64 v[4:5], v34 offset:128
	s_waitcnt lgkmcnt(1)
	ds_read_b32 v35, v48 offset:64
	s_waitcnt lgkmcnt(1)
	v_cmp_lt_f64_e64 s[14:15], v[2:3], v[4:5]
	v_cmp_nlt_f64_e32 vcc, v[2:3], v[4:5]
	s_and_saveexec_b64 s[42:43], vcc
	s_cbranch_execz .LBB2_92
; %bb.91:                               ;   in Loop: Header=BB2_75 Depth=3
	v_cmp_eq_f64_e32 vcc, v[2:3], v[4:5]
	s_waitcnt lgkmcnt(0)
	v_cmp_gt_i32_e64 s[12:13], v7, v35
	s_and_b64 s[12:13], vcc, s[12:13]
	s_andn2_b64 s[14:15], s[14:15], exec
	s_and_b64 s[12:13], s[12:13], exec
	s_or_b64 s[14:15], s[14:15], s[12:13]
.LBB2_92:                               ;   in Loop: Header=BB2_75 Depth=3
	s_or_b64 exec, exec, s[42:43]
	s_and_saveexec_b64 s[12:13], s[14:15]
	s_cbranch_execz .LBB2_94
; %bb.93:                               ;   in Loop: Header=BB2_75 Depth=3
	v_pk_mov_b32 v[2:3], v[4:5], v[4:5] op_sel:[0,1]
	s_waitcnt lgkmcnt(0)
	v_mov_b32_e32 v7, v35
	ds_write_b64 v49, v[4:5]
	ds_write_b32 v50, v35 offset:4096
.LBB2_94:                               ;   in Loop: Header=BB2_75 Depth=3
	s_or_b64 exec, exec, s[12:13]
	ds_read_b64 v[4:5], v34 offset:64
	s_waitcnt lgkmcnt(1)
	ds_read_b32 v35, v48 offset:32
	s_waitcnt lgkmcnt(1)
	v_cmp_lt_f64_e64 s[14:15], v[2:3], v[4:5]
	v_cmp_nlt_f64_e32 vcc, v[2:3], v[4:5]
	s_and_saveexec_b64 s[42:43], vcc
	s_cbranch_execz .LBB2_96
; %bb.95:                               ;   in Loop: Header=BB2_75 Depth=3
	v_cmp_eq_f64_e32 vcc, v[2:3], v[4:5]
	s_waitcnt lgkmcnt(0)
	v_cmp_gt_i32_e64 s[12:13], v7, v35
	s_and_b64 s[12:13], vcc, s[12:13]
	s_andn2_b64 s[14:15], s[14:15], exec
	s_and_b64 s[12:13], s[12:13], exec
	s_or_b64 s[14:15], s[14:15], s[12:13]
.LBB2_96:                               ;   in Loop: Header=BB2_75 Depth=3
	s_or_b64 exec, exec, s[42:43]
	s_and_saveexec_b64 s[12:13], s[14:15]
	s_cbranch_execz .LBB2_98
; %bb.97:                               ;   in Loop: Header=BB2_75 Depth=3
	v_pk_mov_b32 v[2:3], v[4:5], v[4:5] op_sel:[0,1]
	s_waitcnt lgkmcnt(0)
	v_mov_b32_e32 v7, v35
	ds_write_b64 v49, v[4:5]
	ds_write_b32 v50, v35 offset:4096
.LBB2_98:                               ;   in Loop: Header=BB2_75 Depth=3
	s_or_b64 exec, exec, s[12:13]
	ds_read_b64 v[4:5], v34 offset:32
	s_waitcnt lgkmcnt(1)
	ds_read_b32 v35, v48 offset:16
	s_waitcnt lgkmcnt(1)
	v_cmp_lt_f64_e64 s[14:15], v[2:3], v[4:5]
	v_cmp_nlt_f64_e32 vcc, v[2:3], v[4:5]
	s_and_saveexec_b64 s[42:43], vcc
	s_cbranch_execz .LBB2_100
; %bb.99:                               ;   in Loop: Header=BB2_75 Depth=3
	v_cmp_eq_f64_e32 vcc, v[2:3], v[4:5]
	s_waitcnt lgkmcnt(0)
	v_cmp_gt_i32_e64 s[12:13], v7, v35
	s_and_b64 s[12:13], vcc, s[12:13]
	s_andn2_b64 s[14:15], s[14:15], exec
	s_and_b64 s[12:13], s[12:13], exec
	s_or_b64 s[14:15], s[14:15], s[12:13]
.LBB2_100:                              ;   in Loop: Header=BB2_75 Depth=3
	s_or_b64 exec, exec, s[42:43]
	s_and_saveexec_b64 s[12:13], s[14:15]
	s_cbranch_execz .LBB2_102
; %bb.101:                              ;   in Loop: Header=BB2_75 Depth=3
	v_pk_mov_b32 v[2:3], v[4:5], v[4:5] op_sel:[0,1]
	s_waitcnt lgkmcnt(0)
	v_mov_b32_e32 v7, v35
	ds_write_b64 v49, v[4:5]
	ds_write_b32 v50, v35 offset:4096
.LBB2_102:                              ;   in Loop: Header=BB2_75 Depth=3
	s_or_b64 exec, exec, s[12:13]
	ds_read_b64 v[4:5], v34 offset:16
	s_waitcnt lgkmcnt(1)
	ds_read_b32 v35, v48 offset:8
	s_waitcnt lgkmcnt(1)
	v_cmp_lt_f64_e64 s[14:15], v[2:3], v[4:5]
	v_cmp_nlt_f64_e32 vcc, v[2:3], v[4:5]
	s_and_saveexec_b64 s[42:43], vcc
	s_cbranch_execz .LBB2_104
; %bb.103:                              ;   in Loop: Header=BB2_75 Depth=3
	v_cmp_eq_f64_e32 vcc, v[2:3], v[4:5]
	s_waitcnt lgkmcnt(0)
	v_cmp_gt_i32_e64 s[12:13], v7, v35
	s_and_b64 s[12:13], vcc, s[12:13]
	s_andn2_b64 s[14:15], s[14:15], exec
	s_and_b64 s[12:13], s[12:13], exec
	s_or_b64 s[14:15], s[14:15], s[12:13]
.LBB2_104:                              ;   in Loop: Header=BB2_75 Depth=3
	s_or_b64 exec, exec, s[42:43]
	s_and_saveexec_b64 s[12:13], s[14:15]
	s_cbranch_execz .LBB2_106
; %bb.105:                              ;   in Loop: Header=BB2_75 Depth=3
	v_pk_mov_b32 v[2:3], v[4:5], v[4:5] op_sel:[0,1]
	s_waitcnt lgkmcnt(0)
	v_mov_b32_e32 v7, v35
	ds_write_b64 v49, v[4:5]
	ds_write_b32 v50, v35 offset:4096
.LBB2_106:                              ;   in Loop: Header=BB2_75 Depth=3
	s_or_b64 exec, exec, s[12:13]
	ds_read_b64 v[4:5], v34 offset:8
	ds_read_b32 v34, v48 offset:4
	s_waitcnt lgkmcnt(1)
	v_cmp_eq_f64_e64 s[12:13], v[2:3], v[4:5]
	s_waitcnt lgkmcnt(0)
	v_cmp_gt_i32_e64 s[14:15], v7, v34
	v_cmp_lt_f64_e32 vcc, v[2:3], v[4:5]
	s_and_b64 s[12:13], s[12:13], s[14:15]
	s_or_b64 s[12:13], vcc, s[12:13]
	s_and_b64 exec, exec, s[12:13]
	s_cbranch_execz .LBB2_108
; %bb.107:                              ;   in Loop: Header=BB2_75 Depth=3
	ds_write_b64 v49, v[4:5]
	ds_write_b32 v50, v34 offset:4096
.LBB2_108:                              ;   in Loop: Header=BB2_75 Depth=3
	s_or_b64 exec, exec, s[22:23]
	s_waitcnt lgkmcnt(0)
	s_barrier
	s_and_saveexec_b64 s[12:13], s[8:9]
	s_cbranch_execz .LBB2_111
; %bb.109:                              ;   in Loop: Header=BB2_75 Depth=3
	global_load_dwordx2 v[2:3], v6, s[92:93]
	ds_read_b64 v[4:5], v54
	v_mov_b32_e32 v7, s25
	v_mov_b32_e32 v34, s24
	s_mov_b64 s[14:15], 0
	s_waitcnt vmcnt(0)
	v_and_b32_e32 v35, 0x7fffffff, v3
	v_cmp_gt_f64_e64 vcc, |v[2:3]|, s[24:25]
	v_cndmask_b32_e32 v3, v7, v35, vcc
	v_cndmask_b32_e32 v2, v34, v2, vcc
	v_mul_f64 v[34:35], v[26:27], v[2:3]
	s_waitcnt lgkmcnt(0)
	v_div_scale_f64 v[36:37], s[22:23], v[4:5], v[4:5], v[34:35]
	v_rcp_f64_e32 v[38:39], v[36:37]
	v_div_scale_f64 v[40:41], vcc, v[34:35], v[4:5], v[34:35]
	v_pk_mov_b32 v[2:3], v[8:9], v[8:9] op_sel:[0,1]
	v_fma_f64 v[42:43], -v[36:37], v[38:39], 1.0
	v_fmac_f64_e32 v[38:39], v[38:39], v[42:43]
	v_fma_f64 v[42:43], -v[36:37], v[38:39], 1.0
	v_fmac_f64_e32 v[38:39], v[38:39], v[42:43]
	v_mul_f64 v[42:43], v[40:41], v[38:39]
	v_fma_f64 v[36:37], -v[36:37], v[42:43], v[40:41]
	v_div_fmas_f64 v[36:37], v[36:37], v[38:39], v[42:43]
	v_div_fixup_f64 v[4:5], v[36:37], v[4:5], v[34:35]
	v_mov_b32_e32 v7, v0
.LBB2_110:                              ;   Parent Loop BB2_17 Depth=1
                                        ;     Parent Loop BB2_27 Depth=2
                                        ;       Parent Loop BB2_75 Depth=3
                                        ; =>      This Inner Loop Header: Depth=4
	global_load_dwordx2 v[34:35], v[2:3], off
	v_add_u32_e32 v7, 0x100, v7
	v_cmp_lt_i32_e32 vcc, s86, v7
	s_or_b64 s[14:15], vcc, s[14:15]
	s_waitcnt vmcnt(0)
	v_mul_f64 v[34:35], v[4:5], v[34:35]
	global_store_dwordx2 v[2:3], v[34:35], off
	v_add_co_u32_e32 v2, vcc, 0x800, v2
	v_addc_co_u32_e32 v3, vcc, 0, v3, vcc
	s_andn2_b64 exec, exec, s[14:15]
	s_cbranch_execnz .LBB2_110
.LBB2_111:                              ;   in Loop: Header=BB2_75 Depth=3
	s_or_b64 exec, exec, s[12:13]
	s_barrier
	s_and_saveexec_b64 s[14:15], s[0:1]
	s_cbranch_execz .LBB2_138
; %bb.112:                              ;   in Loop: Header=BB2_75 Depth=3
	global_load_dwordx4 v[2:5], v6, s[40:41]
	global_load_dwordx2 v[34:35], v6, s[54:55]
	s_mov_b64 s[12:13], s[68:69]
	s_mov_b64 s[22:23], s[66:67]
	;; [unrolled: 1-line block ×3, first 2 shown]
	s_andn2_b64 vcc, exec, s[70:71]
	s_mov_b32 s16, s85
	s_waitcnt vmcnt(1)
	v_max_f64 v[4:5], |v[4:5]|, |v[4:5]|
	s_waitcnt vmcnt(0)
	v_max_f64 v[34:35], |v[34:35]|, |v[34:35]|
	v_max_f64 v[2:3], |v[2:3]|, |v[2:3]|
	v_max_f64 v[4:5], v[4:5], v[34:35]
	v_max_f64 v[34:35], v[2:3], v[4:5]
	s_cbranch_vccnz .LBB2_114
.LBB2_113:                              ;   Parent Loop BB2_17 Depth=1
                                        ;     Parent Loop BB2_27 Depth=2
                                        ;       Parent Loop BB2_75 Depth=3
                                        ; =>      This Inner Loop Header: Depth=4
	global_load_dwordx2 v[2:3], v6, s[22:23]
	global_load_dwordx2 v[4:5], v6, s[42:43]
	;; [unrolled: 1-line block ×3, first 2 shown]
	s_add_i32 s16, s16, -1
	s_add_u32 s42, s42, 8
	s_addc_u32 s43, s43, 0
	s_add_u32 s22, s22, 8
	s_addc_u32 s23, s23, 0
	v_max_f64 v[34:35], v[34:35], v[34:35]
	s_add_u32 s12, s12, 8
	s_addc_u32 s13, s13, 0
	s_cmp_lg_u32 s16, 0
	s_waitcnt vmcnt(2)
	v_max_f64 v[2:3], |v[2:3]|, |v[2:3]|
	s_waitcnt vmcnt(1)
	v_max_f64 v[4:5], |v[4:5]|, |v[4:5]|
	;; [unrolled: 2-line block ×3, first 2 shown]
	v_max_f64 v[2:3], v[34:35], v[2:3]
	v_max_f64 v[4:5], v[36:37], v[4:5]
	;; [unrolled: 1-line block ×3, first 2 shown]
	s_cbranch_scc1 .LBB2_113
.LBB2_114:                              ;   in Loop: Header=BB2_75 Depth=3
	s_mov_b32 s16, 1
	s_mov_b64 s[12:13], 0
	s_mov_b32 s61, s86
	s_mov_b64 s[22:23], s[74:75]
	s_branch .LBB2_116
.LBB2_115:                              ;   in Loop: Header=BB2_116 Depth=4
	s_add_u32 s58, s58, s12
	s_addc_u32 s59, s59, s13
	global_load_dwordx2 v[36:37], v6, s[58:59]
	s_add_i32 s16, s16, 1
	s_add_u32 s12, s12, 8
	s_addc_u32 s13, s13, 0
	s_add_u32 s22, s22, 4
	s_addc_u32 s23, s23, 0
	s_add_i32 s61, s61, -1
	s_cmp_lg_u32 s61, 0
	s_waitcnt vmcnt(0)
	v_fma_f64 v[2:3], -v[4:5], v[36:37], v[2:3]
	global_store_dwordx2 v6, v[2:3], s[42:43]
	s_cbranch_scc0 .LBB2_120
.LBB2_116:                              ;   Parent Loop BB2_17 Depth=1
                                        ;     Parent Loop BB2_27 Depth=2
                                        ;       Parent Loop BB2_75 Depth=3
                                        ; =>      This Inner Loop Header: Depth=4
	global_load_dword v2, v6, s[22:23]
	s_waitcnt vmcnt(0)
	v_cmp_ne_u32_e32 vcc, 0, v2
	s_cbranch_vccz .LBB2_118
; %bb.117:                              ;   in Loop: Header=BB2_116 Depth=4
	s_add_u32 s58, s36, s12
	s_addc_u32 s59, s37, s13
	global_load_dwordx4 v[2:5], v6, s[58:59]
	s_lshl_b64 s[42:43], s[16:17], 3
	s_add_u32 s42, s36, s42
	s_addc_u32 s43, s37, s43
	s_waitcnt vmcnt(0)
	global_store_dwordx2 v6, v[4:5], s[58:59]
	s_mov_b64 s[58:59], s[46:47]
	s_cbranch_execnz .LBB2_115
	s_branch .LBB2_119
.LBB2_118:                              ;   in Loop: Header=BB2_116 Depth=4
                                        ; implicit-def: $sgpr42_sgpr43
                                        ; implicit-def: $vgpr2_vgpr3
	s_mov_b64 s[58:59], s[46:47]
.LBB2_119:                              ;   in Loop: Header=BB2_116 Depth=4
	s_add_u32 s58, s36, s12
	s_addc_u32 s59, s37, s13
	s_add_u32 s42, s58, 8
	s_addc_u32 s43, s59, 0
	;; [unrolled: 2-line block ×3, first 2 shown]
	global_load_dwordx2 v[2:3], v6, s[58:59] offset:8
	global_load_dwordx2 v[4:5], v6, s[62:63]
	s_mov_b64 s[58:59], s[36:37]
	s_branch .LBB2_115
.LBB2_120:                              ;   in Loop: Header=BB2_75 Depth=3
	v_mul_f64 v[2:3], v[34:35], s[24:25]
	v_cmp_eq_f64_e32 vcc, 0, v[2:3]
	s_and_b64 s[12:13], vcc, exec
	v_readfirstlane_b32 s16, v3
	v_readfirstlane_b32 s12, v2
	s_cselect_b32 s61, s25, s16
	s_cselect_b32 s62, s24, s12
	s_and_b32 s63, s61, 0x7fffffff
	s_mov_b32 s64, s62
	s_mov_b32 s16, s86
	s_branch .LBB2_123
.LBB2_121:                              ;   in Loop: Header=BB2_123 Depth=4
	v_pk_mov_b32 v[4:5], v[40:41], v[40:41] op_sel:[0,1]
.LBB2_122:                              ;   in Loop: Header=BB2_123 Depth=4
	v_div_scale_f64 v[34:35], s[12:13], v[4:5], v[4:5], v[2:3]
	v_rcp_f64_e32 v[36:37], v[34:35]
	v_div_scale_f64 v[38:39], vcc, v[2:3], v[4:5], v[2:3]
	s_add_i32 s12, s16, -1
	v_fma_f64 v[40:41], -v[34:35], v[36:37], 1.0
	v_fmac_f64_e32 v[36:37], v[36:37], v[40:41]
	v_fma_f64 v[40:41], -v[34:35], v[36:37], 1.0
	v_fmac_f64_e32 v[36:37], v[36:37], v[40:41]
	v_mul_f64 v[40:41], v[38:39], v[36:37]
	v_fma_f64 v[34:35], -v[34:35], v[40:41], v[38:39]
	v_div_fmas_f64 v[34:35], v[34:35], v[36:37], v[40:41]
	v_div_fixup_f64 v[2:3], v[34:35], v[4:5], v[2:3]
	s_cmp_gt_i32 s16, 0
	s_mov_b32 s16, s12
	global_store_dwordx2 v6, v[2:3], s[22:23]
	s_cbranch_scc0 .LBB2_138
.LBB2_123:                              ;   Parent Loop BB2_17 Depth=1
                                        ;     Parent Loop BB2_27 Depth=2
                                        ;       Parent Loop BB2_75 Depth=3
                                        ; =>      This Loop Header: Depth=4
                                        ;           Child Loop BB2_130 Depth 5
	s_lshl_b64 s[12:13], s[16:17], 3
	s_add_u32 s22, s36, s12
	s_addc_u32 s23, s37, s13
	global_load_dwordx2 v[2:3], v6, s[22:23]
	s_cmp_ge_i32 s16, s86
	s_cbranch_scc1 .LBB2_125
; %bb.124:                              ;   in Loop: Header=BB2_123 Depth=4
	s_add_u32 s42, s54, s12
	s_addc_u32 s43, s55, s13
	global_load_dwordx2 v[4:5], v6, s[42:43]
	global_load_dwordx2 v[34:35], v6, s[22:23] offset:8
	s_waitcnt vmcnt(0)
	v_fma_f64 v[2:3], -v[4:5], v[34:35], v[2:3]
.LBB2_125:                              ;   in Loop: Header=BB2_123 Depth=4
	s_cmp_ge_i32 s16, s85
	s_cbranch_scc1 .LBB2_127
; %bb.126:                              ;   in Loop: Header=BB2_123 Depth=4
	s_add_u32 s42, s48, s12
	s_addc_u32 s43, s49, s13
	global_load_dwordx2 v[4:5], v6, s[42:43]
	global_load_dwordx2 v[34:35], v6, s[22:23] offset:16
	s_waitcnt vmcnt(0)
	v_fma_f64 v[2:3], -v[4:5], v[34:35], v[2:3]
.LBB2_127:                              ;   in Loop: Header=BB2_123 Depth=4
	s_add_u32 s12, s40, s12
	s_addc_u32 s13, s41, s13
	global_load_dwordx2 v[4:5], v6, s[12:13]
	s_waitcnt vmcnt(0)
	v_cmp_nlt_f64_e64 s[12:13], |v[4:5]|, 1.0
	s_and_b64 vcc, exec, s[12:13]
	s_cbranch_vccnz .LBB2_122
; %bb.128:                              ;   in Loop: Header=BB2_123 Depth=4
	v_cmp_nle_f64_e32 vcc, 0, v[4:5]
	s_xor_b32 s42, s63, 0x80000000
	s_and_b32 s43, s61, 0x7fffffff
	s_and_b64 s[12:13], vcc, exec
	s_cselect_b32 s13, s42, s43
	s_cselect_b32 s12, s64, s62
	v_and_b32_e32 v39, 0x7fffffff, v5
	v_mov_b32_e32 v38, v4
	v_mul_f64 v[34:35], |v[2:3]|, s[26:27]
	v_pk_mov_b32 v[36:37], s[12:13], s[12:13] op_sel:[0,1]
	s_branch .LBB2_130
.LBB2_129:                              ;   in Loop: Header=BB2_130 Depth=5
	v_add_f64 v[40:41], v[4:5], v[36:37]
	v_add_f64 v[36:37], v[36:37], v[36:37]
	v_and_b32_e32 v39, 0x7fffffff, v41
	v_mov_b32_e32 v38, v40
	v_cmp_nlt_f64_e64 s[42:43], |v[40:41]|, 1.0
	s_mov_b64 s[12:13], -1
	v_pk_mov_b32 v[42:43], v[4:5], v[4:5] op_sel:[0,1]
	s_andn2_b64 vcc, exec, s[42:43]
	v_pk_mov_b32 v[4:5], v[40:41], v[40:41] op_sel:[0,1]
	s_cbranch_vccz .LBB2_136
.LBB2_130:                              ;   Parent Loop BB2_17 Depth=1
                                        ;     Parent Loop BB2_27 Depth=2
                                        ;       Parent Loop BB2_75 Depth=3
                                        ;         Parent Loop BB2_123 Depth=4
                                        ; =>        This Inner Loop Header: Depth=5
	v_cmp_ngt_f64_e32 vcc, s[26:27], v[38:39]
	s_cbranch_vccz .LBB2_132
; %bb.131:                              ;   in Loop: Header=BB2_130 Depth=5
	v_mul_f64 v[40:41], v[16:17], v[38:39]
	v_cmp_gt_f64_e64 s[42:43], |v[2:3]|, v[40:41]
	s_mov_b64 s[12:13], -1
	v_pk_mov_b32 v[40:41], v[4:5], v[4:5] op_sel:[0,1]
	v_pk_mov_b32 v[42:43], v[4:5], v[4:5] op_sel:[0,1]
	s_cbranch_execz .LBB2_133
	s_branch .LBB2_134
.LBB2_132:                              ;   in Loop: Header=BB2_130 Depth=5
	s_mov_b64 s[42:43], 0
                                        ; implicit-def: $sgpr12_sgpr13
	v_pk_mov_b32 v[40:41], v[4:5], v[4:5] op_sel:[0,1]
	v_pk_mov_b32 v[42:43], v[4:5], v[4:5] op_sel:[0,1]
.LBB2_133:                              ;   in Loop: Header=BB2_130 Depth=5
	v_cmp_eq_f64_e32 vcc, 0, v[4:5]
	v_cmp_gt_f64_e64 s[12:13], v[34:35], v[38:39]
	s_or_b64 s[42:43], vcc, s[12:13]
	s_mov_b64 s[12:13], 0
	v_pk_mov_b32 v[42:43], v[4:5], v[4:5] op_sel:[0,1]
                                        ; implicit-def: $vgpr40_vgpr41
.LBB2_134:                              ;   in Loop: Header=BB2_130 Depth=5
	s_andn2_b64 vcc, exec, s[42:43]
	s_cbranch_vccz .LBB2_129
; %bb.135:                              ;   in Loop: Header=BB2_123 Depth=4
                                        ; implicit-def: $vgpr36_vgpr37
                                        ; implicit-def: $vgpr38_vgpr39
	v_pk_mov_b32 v[4:5], v[40:41], v[40:41] op_sel:[0,1]
.LBB2_136:                              ;   in Loop: Header=BB2_123 Depth=4
	s_andn2_b64 vcc, exec, s[12:13]
	s_cbranch_vccz .LBB2_121
; %bb.137:                              ;   in Loop: Header=BB2_123 Depth=4
	v_mul_f64 v[2:3], v[16:17], v[2:3]
	v_mul_f64 v[40:41], v[16:17], v[42:43]
	s_branch .LBB2_121
.LBB2_138:                              ;   in Loop: Header=BB2_75 Depth=3
	s_or_b64 exec, exec, s[14:15]
	s_andn2_b64 vcc, exec, s[38:39]
	s_barrier
	s_cbranch_vccnz .LBB2_148
; %bb.139:                              ;   in Loop: Header=BB2_75 Depth=3
	s_and_b64 s[12:13], s[72:73], exec
	s_cselect_b32 s16, s44, s7
	s_cmp_eq_u32 s16, s44
	s_mov_b32 s7, s44
	s_cbranch_scc1 .LBB2_148
; %bb.140:                              ;   in Loop: Header=BB2_75 Depth=3
	s_cmp_lt_i32 s16, s44
	s_cselect_b64 s[12:13], -1, 0
	s_and_b64 s[14:15], s[0:1], s[12:13]
	s_and_saveexec_b64 s[12:13], s[14:15]
	s_cbranch_execz .LBB2_147
; %bb.141:                              ;   in Loop: Header=BB2_75 Depth=3
	s_mul_i32 s7, s53, s16
	s_add_i32 s7, s82, s7
	s_mov_b32 s42, s16
.LBB2_142:                              ;   Parent Loop BB2_17 Depth=1
                                        ;     Parent Loop BB2_27 Depth=2
                                        ;       Parent Loop BB2_75 Depth=3
                                        ; =>      This Loop Header: Depth=4
                                        ;           Child Loop BB2_143 Depth 5
                                        ;           Child Loop BB2_145 Depth 5
	v_pk_mov_b32 v[2:3], 0, 0
	s_mov_b64 s[14:15], s[36:37]
	s_mov_b32 s22, s7
	s_mov_b32 s43, s87
.LBB2_143:                              ;   Parent Loop BB2_17 Depth=1
                                        ;     Parent Loop BB2_27 Depth=2
                                        ;       Parent Loop BB2_75 Depth=3
                                        ;         Parent Loop BB2_142 Depth=4
                                        ; =>        This Inner Loop Header: Depth=5
	s_ashr_i32 s23, s22, 31
	s_lshl_b64 s[58:59], s[22:23], 3
	s_add_u32 s58, s52, s58
	s_addc_u32 s59, s56, s59
	global_load_dwordx2 v[4:5], v6, s[14:15]
	global_load_dwordx2 v[34:35], v6, s[58:59]
	s_add_i32 s43, s43, -1
	s_add_i32 s22, s22, 1
	s_add_u32 s14, s14, 8
	s_addc_u32 s15, s15, 0
	s_cmp_lg_u32 s43, 0
	s_waitcnt vmcnt(0)
	v_fmac_f64_e32 v[2:3], v[4:5], v[34:35]
	s_cbranch_scc1 .LBB2_143
; %bb.144:                              ;   in Loop: Header=BB2_142 Depth=4
	s_mov_b32 s22, 0
	s_mov_b64 s[14:15], s[36:37]
.LBB2_145:                              ;   Parent Loop BB2_17 Depth=1
                                        ;     Parent Loop BB2_27 Depth=2
                                        ;       Parent Loop BB2_75 Depth=3
                                        ;         Parent Loop BB2_142 Depth=4
                                        ; =>        This Inner Loop Header: Depth=5
	s_add_i32 s58, s7, s22
	s_ashr_i32 s59, s58, 31
	s_lshl_b64 s[58:59], s[58:59], 3
	s_add_u32 s58, s52, s58
	s_addc_u32 s59, s56, s59
	global_load_dwordx2 v[4:5], v6, s[14:15]
	global_load_dwordx2 v[34:35], v6, s[58:59]
	s_add_i32 s22, s22, 1
	s_waitcnt vmcnt(0)
	v_fma_f64 v[4:5], -v[2:3], v[34:35], v[4:5]
	global_store_dwordx2 v6, v[4:5], s[14:15]
	s_add_u32 s14, s14, 8
	s_addc_u32 s15, s15, 0
	s_cmp_lg_u32 s87, s22
	s_cbranch_scc1 .LBB2_145
; %bb.146:                              ;   in Loop: Header=BB2_142 Depth=4
	s_add_i32 s42, s42, 1
	s_add_i32 s7, s7, s53
	s_cmp_lt_i32 s42, s44
	s_cbranch_scc1 .LBB2_142
.LBB2_147:                              ;   in Loop: Header=BB2_75 Depth=3
	s_or_b64 exec, exec, s[12:13]
	s_mov_b32 s7, s16
	s_barrier
.LBB2_148:                              ;   in Loop: Header=BB2_75 Depth=3
	v_bfrev_b32_e32 v7, -2
	v_pk_mov_b32 v[2:3], 0, 0
	s_and_saveexec_b64 s[22:23], s[8:9]
	s_cbranch_execz .LBB2_152
; %bb.149:                              ;   in Loop: Header=BB2_75 Depth=3
	s_mov_b64 s[42:43], 0
	v_bfrev_b32_e32 v7, -2
	v_pk_mov_b32 v[2:3], 0, 0
	v_pk_mov_b32 v[4:5], v[8:9], v[8:9] op_sel:[0,1]
	v_mov_b32_e32 v34, v0
.LBB2_150:                              ;   Parent Loop BB2_17 Depth=1
                                        ;     Parent Loop BB2_27 Depth=2
                                        ;       Parent Loop BB2_75 Depth=3
                                        ; =>      This Inner Loop Header: Depth=4
	global_load_dwordx2 v[36:37], v[4:5], off
	v_add_co_u32_e32 v4, vcc, 0x800, v4
	v_cmp_eq_u32_e64 s[12:13], s51, v7
	v_add_u32_e32 v35, 1, v34
	v_add_u32_e32 v34, 0x100, v34
	v_addc_co_u32_e32 v5, vcc, 0, v5, vcc
	v_cmp_lt_i32_e64 s[14:15], s86, v34
	s_waitcnt vmcnt(0)
	v_cmp_lt_f64_e64 s[58:59], v[2:3], |v[36:37]|
	v_and_b32_e32 v38, 0x7fffffff, v37
	s_or_b64 vcc, s[58:59], s[12:13]
	v_cndmask_b32_e32 v3, v3, v38, vcc
	v_cndmask_b32_e32 v2, v2, v36, vcc
	s_or_b64 s[42:43], s[14:15], s[42:43]
	v_cndmask_b32_e32 v7, v7, v35, vcc
	s_andn2_b64 exec, exec, s[42:43]
	s_cbranch_execnz .LBB2_150
; %bb.151:                              ;   in Loop: Header=BB2_75 Depth=3
	s_or_b64 exec, exec, s[42:43]
.LBB2_152:                              ;   in Loop: Header=BB2_75 Depth=3
	s_or_b64 exec, exec, s[22:23]
	ds_write_b64 v49, v[2:3]
	ds_write_b32 v50, v7 offset:4096
	s_waitcnt lgkmcnt(0)
	s_barrier
	s_and_saveexec_b64 s[14:15], s[2:3]
	s_cbranch_execz .LBB2_158
; %bb.153:                              ;   in Loop: Header=BB2_75 Depth=3
	v_add_u32_e32 v4, v50, v1
	ds_read_b64 v[4:5], v4 offset:1024
	ds_read_b32 v34, v48 offset:512
	s_waitcnt lgkmcnt(1)
	v_cmp_lt_f64_e64 s[22:23], v[2:3], v[4:5]
	v_cmp_nlt_f64_e32 vcc, v[2:3], v[4:5]
	s_and_saveexec_b64 s[42:43], vcc
	s_cbranch_execz .LBB2_155
; %bb.154:                              ;   in Loop: Header=BB2_75 Depth=3
	v_cmp_eq_f64_e32 vcc, v[2:3], v[4:5]
	s_waitcnt lgkmcnt(0)
	v_cmp_gt_i32_e64 s[12:13], v7, v34
	s_and_b64 s[12:13], vcc, s[12:13]
	s_andn2_b64 s[22:23], s[22:23], exec
	s_and_b64 s[12:13], s[12:13], exec
	s_or_b64 s[22:23], s[22:23], s[12:13]
.LBB2_155:                              ;   in Loop: Header=BB2_75 Depth=3
	s_or_b64 exec, exec, s[42:43]
	s_and_saveexec_b64 s[12:13], s[22:23]
	s_cbranch_execz .LBB2_157
; %bb.156:                              ;   in Loop: Header=BB2_75 Depth=3
	s_waitcnt lgkmcnt(0)
	v_mov_b32_e32 v7, v34
	v_pk_mov_b32 v[2:3], v[4:5], v[4:5] op_sel:[0,1]
	ds_write_b64 v49, v[4:5]
	ds_write_b32 v50, v34 offset:4096
.LBB2_157:                              ;   in Loop: Header=BB2_75 Depth=3
	s_or_b64 exec, exec, s[12:13]
.LBB2_158:                              ;   in Loop: Header=BB2_75 Depth=3
	s_or_b64 exec, exec, s[14:15]
	s_waitcnt lgkmcnt(0)
	s_barrier
	s_and_saveexec_b64 s[22:23], s[4:5]
	s_cbranch_execz .LBB2_185
; %bb.159:                              ;   in Loop: Header=BB2_75 Depth=3
	v_add_u32_e32 v34, v50, v1
	ds_read_b64 v[4:5], v34 offset:512
	ds_read_b32 v35, v48 offset:256
	s_waitcnt lgkmcnt(1)
	v_cmp_lt_f64_e64 s[14:15], v[2:3], v[4:5]
	v_cmp_nlt_f64_e32 vcc, v[2:3], v[4:5]
	s_and_saveexec_b64 s[42:43], vcc
	s_cbranch_execz .LBB2_161
; %bb.160:                              ;   in Loop: Header=BB2_75 Depth=3
	v_cmp_eq_f64_e32 vcc, v[2:3], v[4:5]
	s_waitcnt lgkmcnt(0)
	v_cmp_gt_i32_e64 s[12:13], v7, v35
	s_and_b64 s[12:13], vcc, s[12:13]
	s_andn2_b64 s[14:15], s[14:15], exec
	s_and_b64 s[12:13], s[12:13], exec
	s_or_b64 s[14:15], s[14:15], s[12:13]
.LBB2_161:                              ;   in Loop: Header=BB2_75 Depth=3
	s_or_b64 exec, exec, s[42:43]
	s_and_saveexec_b64 s[12:13], s[14:15]
	s_cbranch_execz .LBB2_163
; %bb.162:                              ;   in Loop: Header=BB2_75 Depth=3
	v_pk_mov_b32 v[2:3], v[4:5], v[4:5] op_sel:[0,1]
	s_waitcnt lgkmcnt(0)
	v_mov_b32_e32 v7, v35
	ds_write_b64 v49, v[4:5]
	ds_write_b32 v50, v35 offset:4096
.LBB2_163:                              ;   in Loop: Header=BB2_75 Depth=3
	s_or_b64 exec, exec, s[12:13]
	ds_read_b64 v[4:5], v34 offset:256
	s_waitcnt lgkmcnt(1)
	ds_read_b32 v35, v48 offset:128
	s_waitcnt lgkmcnt(1)
	v_cmp_lt_f64_e64 s[14:15], v[2:3], v[4:5]
	v_cmp_nlt_f64_e32 vcc, v[2:3], v[4:5]
	s_and_saveexec_b64 s[42:43], vcc
	s_cbranch_execz .LBB2_165
; %bb.164:                              ;   in Loop: Header=BB2_75 Depth=3
	v_cmp_eq_f64_e32 vcc, v[2:3], v[4:5]
	s_waitcnt lgkmcnt(0)
	v_cmp_gt_i32_e64 s[12:13], v7, v35
	s_and_b64 s[12:13], vcc, s[12:13]
	s_andn2_b64 s[14:15], s[14:15], exec
	s_and_b64 s[12:13], s[12:13], exec
	s_or_b64 s[14:15], s[14:15], s[12:13]
.LBB2_165:                              ;   in Loop: Header=BB2_75 Depth=3
	s_or_b64 exec, exec, s[42:43]
	s_and_saveexec_b64 s[12:13], s[14:15]
	s_cbranch_execz .LBB2_167
; %bb.166:                              ;   in Loop: Header=BB2_75 Depth=3
	v_pk_mov_b32 v[2:3], v[4:5], v[4:5] op_sel:[0,1]
	s_waitcnt lgkmcnt(0)
	v_mov_b32_e32 v7, v35
	ds_write_b64 v49, v[4:5]
	ds_write_b32 v50, v35 offset:4096
.LBB2_167:                              ;   in Loop: Header=BB2_75 Depth=3
	s_or_b64 exec, exec, s[12:13]
	ds_read_b64 v[4:5], v34 offset:128
	s_waitcnt lgkmcnt(1)
	;; [unrolled: 28-line block ×5, first 2 shown]
	ds_read_b32 v35, v48 offset:8
	s_waitcnt lgkmcnt(1)
	v_cmp_lt_f64_e64 s[14:15], v[2:3], v[4:5]
	v_cmp_nlt_f64_e32 vcc, v[2:3], v[4:5]
	s_and_saveexec_b64 s[42:43], vcc
	s_cbranch_execz .LBB2_181
; %bb.180:                              ;   in Loop: Header=BB2_75 Depth=3
	v_cmp_eq_f64_e32 vcc, v[2:3], v[4:5]
	s_waitcnt lgkmcnt(0)
	v_cmp_gt_i32_e64 s[12:13], v7, v35
	s_and_b64 s[12:13], vcc, s[12:13]
	s_andn2_b64 s[14:15], s[14:15], exec
	s_and_b64 s[12:13], s[12:13], exec
	s_or_b64 s[14:15], s[14:15], s[12:13]
.LBB2_181:                              ;   in Loop: Header=BB2_75 Depth=3
	s_or_b64 exec, exec, s[42:43]
	s_and_saveexec_b64 s[12:13], s[14:15]
	s_cbranch_execz .LBB2_183
; %bb.182:                              ;   in Loop: Header=BB2_75 Depth=3
	v_pk_mov_b32 v[2:3], v[4:5], v[4:5] op_sel:[0,1]
	s_waitcnt lgkmcnt(0)
	v_mov_b32_e32 v7, v35
	ds_write_b64 v49, v[4:5]
	ds_write_b32 v50, v35 offset:4096
.LBB2_183:                              ;   in Loop: Header=BB2_75 Depth=3
	s_or_b64 exec, exec, s[12:13]
	ds_read_b64 v[4:5], v34 offset:8
	ds_read_b32 v34, v48 offset:4
	s_waitcnt lgkmcnt(1)
	v_cmp_eq_f64_e64 s[12:13], v[2:3], v[4:5]
	s_waitcnt lgkmcnt(0)
	v_cmp_gt_i32_e64 s[14:15], v7, v34
	v_cmp_lt_f64_e32 vcc, v[2:3], v[4:5]
	s_and_b64 s[12:13], s[12:13], s[14:15]
	s_or_b64 s[12:13], vcc, s[12:13]
	s_and_b64 exec, exec, s[12:13]
	s_cbranch_execz .LBB2_185
; %bb.184:                              ;   in Loop: Header=BB2_75 Depth=3
	ds_write_b64 v49, v[4:5]
	ds_write_b32 v50, v34 offset:4096
.LBB2_185:                              ;   in Loop: Header=BB2_75 Depth=3
	s_or_b64 exec, exec, s[22:23]
	s_waitcnt lgkmcnt(0)
	s_barrier
	ds_read_b64 v[2:3], v54
	s_waitcnt lgkmcnt(0)
	v_cmp_ge_f64_e32 vcc, v[2:3], v[24:25]
	s_cmp_lg_u64 vcc, 0
	s_addc_u32 s45, s45, 0
	s_add_i32 s14, s60, 1
	s_cmp_lt_u32 s60, 4
	s_cselect_b64 s[22:23], -1, 0
	s_cmp_lt_u32 s45, 2
	s_cselect_b64 s[12:13], -1, 0
	s_and_b64 s[22:23], s[22:23], s[12:13]
	s_and_b64 vcc, exec, s[22:23]
	s_cbranch_vccz .LBB2_187
; %bb.186:                              ;   in Loop: Header=BB2_75 Depth=3
	s_mov_b32 s60, s14
	v_bfrev_b32_e32 v7, -2
	v_pk_mov_b32 v[2:3], 0, 0
	s_and_saveexec_b64 s[22:23], s[8:9]
	s_cbranch_execnz .LBB2_72
	s_branch .LBB2_75
.LBB2_187:                              ;   in Loop: Header=BB2_27 Depth=2
	v_readlane_b32 s14, v64, 8
	v_readlane_b32 s15, v64, 9
	s_and_b64 s[14:15], s[14:15], s[12:13]
	s_and_saveexec_b64 s[12:13], s[14:15]
	s_cbranch_execz .LBB2_189
; %bb.188:                              ;   in Loop: Header=BB2_27 Depth=2
	ds_read_b32 v2, v6
	v_readlane_b32 s22, v64, 2
	v_readlane_b32 s23, v64, 3
	s_add_i32 s14, s44, 1
	v_mov_b32_e32 v7, s23
	s_waitcnt lgkmcnt(0)
	v_ashrrev_i32_e32 v3, 31, v2
	v_lshlrev_b64 v[4:5], 2, v[2:3]
	v_add_co_u32_e32 v4, vcc, s22, v4
	v_addc_co_u32_e32 v5, vcc, v7, v5, vcc
	v_mov_b32_e32 v3, s14
	v_add_u32_e32 v2, 1, v2
	flat_store_dword v[4:5], v3
	ds_write_b32 v6, v2
.LBB2_189:                              ;   in Loop: Header=BB2_27 Depth=2
	s_or_b64 exec, exec, s[12:13]
	v_bfrev_b32_e32 v34, -2
	v_pk_mov_b32 v[2:3], 0, 0
	s_and_saveexec_b64 s[22:23], s[8:9]
	v_readlane_b32 s62, v64, 37
	v_readlane_b32 s64, v64, 46
	s_mov_b32 s60, s10
	s_mov_b32 s61, s11
	v_readlane_b32 s63, v64, 38
	v_readlane_b32 s65, v64, 47
	s_cbranch_execz .LBB2_193
; %bb.190:                              ;   in Loop: Header=BB2_27 Depth=2
	s_mov_b64 s[38:39], 0
	v_bfrev_b32_e32 v34, -2
	v_pk_mov_b32 v[2:3], 0, 0
	v_pk_mov_b32 v[4:5], v[8:9], v[8:9] op_sel:[0,1]
	v_mov_b32_e32 v7, v0
.LBB2_191:                              ;   Parent Loop BB2_17 Depth=1
                                        ;     Parent Loop BB2_27 Depth=2
                                        ; =>    This Inner Loop Header: Depth=3
	global_load_dwordx2 v[36:37], v[4:5], off
	v_add_co_u32_e32 v4, vcc, 0x800, v4
	v_cmp_eq_u32_e64 s[12:13], s51, v34
	v_add_u32_e32 v35, 1, v7
	v_add_u32_e32 v7, 0x100, v7
	v_addc_co_u32_e32 v5, vcc, 0, v5, vcc
	v_cmp_lt_i32_e64 s[14:15], s86, v7
	s_waitcnt vmcnt(0)
	v_cmp_lt_f64_e64 s[42:43], v[2:3], |v[36:37]|
	v_and_b32_e32 v38, 0x7fffffff, v37
	s_or_b64 vcc, s[42:43], s[12:13]
	v_cndmask_b32_e32 v3, v3, v38, vcc
	v_cndmask_b32_e32 v2, v2, v36, vcc
	s_or_b64 s[38:39], s[14:15], s[38:39]
	v_cndmask_b32_e32 v34, v34, v35, vcc
	s_andn2_b64 exec, exec, s[38:39]
	s_cbranch_execnz .LBB2_191
; %bb.192:                              ;   in Loop: Header=BB2_27 Depth=2
	s_or_b64 exec, exec, s[38:39]
.LBB2_193:                              ;   in Loop: Header=BB2_27 Depth=2
	s_or_b64 exec, exec, s[22:23]
	v_add_u32_e32 v7, v50, v1
	ds_write_b64 v49, v[2:3]
	ds_write_b32 v50, v34 offset:4096
	s_waitcnt lgkmcnt(0)
	s_barrier
	s_and_saveexec_b64 s[14:15], s[2:3]
	s_cbranch_execz .LBB2_199
; %bb.194:                              ;   in Loop: Header=BB2_27 Depth=2
	ds_read_b64 v[4:5], v7 offset:1024
	ds_read_b32 v35, v48 offset:512
	s_waitcnt lgkmcnt(0)
	v_cmp_lt_f64_e64 s[22:23], v[2:3], v[4:5]
	v_cmp_nlt_f64_e32 vcc, v[2:3], v[4:5]
	s_and_saveexec_b64 s[38:39], vcc
; %bb.195:                              ;   in Loop: Header=BB2_27 Depth=2
	v_cmp_eq_f64_e32 vcc, v[2:3], v[4:5]
	v_cmp_gt_i32_e64 s[12:13], v34, v35
	s_and_b64 s[12:13], vcc, s[12:13]
	s_andn2_b64 s[22:23], s[22:23], exec
	s_and_b64 s[12:13], s[12:13], exec
	s_or_b64 s[22:23], s[22:23], s[12:13]
; %bb.196:                              ;   in Loop: Header=BB2_27 Depth=2
	s_or_b64 exec, exec, s[38:39]
	s_and_saveexec_b64 s[12:13], s[22:23]
	s_cbranch_execz .LBB2_198
; %bb.197:                              ;   in Loop: Header=BB2_27 Depth=2
	v_mov_b32_e32 v34, v35
	v_pk_mov_b32 v[2:3], v[4:5], v[4:5] op_sel:[0,1]
	ds_write_b64 v49, v[4:5]
	ds_write_b32 v50, v35 offset:4096
.LBB2_198:                              ;   in Loop: Header=BB2_27 Depth=2
	s_or_b64 exec, exec, s[12:13]
.LBB2_199:                              ;   in Loop: Header=BB2_27 Depth=2
	s_or_b64 exec, exec, s[14:15]
	s_waitcnt lgkmcnt(0)
	s_barrier
	s_and_saveexec_b64 s[22:23], s[4:5]
	s_cbranch_execz .LBB2_226
; %bb.200:                              ;   in Loop: Header=BB2_27 Depth=2
	ds_read_b64 v[4:5], v7 offset:512
	ds_read_b32 v35, v48 offset:256
	s_waitcnt lgkmcnt(0)
	v_cmp_lt_f64_e64 s[14:15], v[2:3], v[4:5]
	v_cmp_nlt_f64_e32 vcc, v[2:3], v[4:5]
	s_and_saveexec_b64 s[38:39], vcc
; %bb.201:                              ;   in Loop: Header=BB2_27 Depth=2
	v_cmp_eq_f64_e32 vcc, v[2:3], v[4:5]
	v_cmp_gt_i32_e64 s[12:13], v34, v35
	s_and_b64 s[12:13], vcc, s[12:13]
	s_andn2_b64 s[14:15], s[14:15], exec
	s_and_b64 s[12:13], s[12:13], exec
	s_or_b64 s[14:15], s[14:15], s[12:13]
; %bb.202:                              ;   in Loop: Header=BB2_27 Depth=2
	s_or_b64 exec, exec, s[38:39]
	s_and_saveexec_b64 s[12:13], s[14:15]
	s_cbranch_execz .LBB2_204
; %bb.203:                              ;   in Loop: Header=BB2_27 Depth=2
	v_pk_mov_b32 v[2:3], v[4:5], v[4:5] op_sel:[0,1]
	v_mov_b32_e32 v34, v35
	ds_write_b64 v49, v[4:5]
	ds_write_b32 v50, v35 offset:4096
.LBB2_204:                              ;   in Loop: Header=BB2_27 Depth=2
	s_or_b64 exec, exec, s[12:13]
	ds_read_b64 v[4:5], v7 offset:256
	ds_read_b32 v35, v48 offset:128
	s_waitcnt lgkmcnt(0)
	v_cmp_lt_f64_e64 s[14:15], v[2:3], v[4:5]
	v_cmp_nlt_f64_e32 vcc, v[2:3], v[4:5]
	s_and_saveexec_b64 s[38:39], vcc
; %bb.205:                              ;   in Loop: Header=BB2_27 Depth=2
	v_cmp_eq_f64_e32 vcc, v[2:3], v[4:5]
	v_cmp_gt_i32_e64 s[12:13], v34, v35
	s_and_b64 s[12:13], vcc, s[12:13]
	s_andn2_b64 s[14:15], s[14:15], exec
	s_and_b64 s[12:13], s[12:13], exec
	s_or_b64 s[14:15], s[14:15], s[12:13]
; %bb.206:                              ;   in Loop: Header=BB2_27 Depth=2
	s_or_b64 exec, exec, s[38:39]
	s_and_saveexec_b64 s[12:13], s[14:15]
	s_cbranch_execz .LBB2_208
; %bb.207:                              ;   in Loop: Header=BB2_27 Depth=2
	v_pk_mov_b32 v[2:3], v[4:5], v[4:5] op_sel:[0,1]
	v_mov_b32_e32 v34, v35
	ds_write_b64 v49, v[4:5]
	ds_write_b32 v50, v35 offset:4096
.LBB2_208:                              ;   in Loop: Header=BB2_27 Depth=2
	s_or_b64 exec, exec, s[12:13]
	;; [unrolled: 24-line block ×6, first 2 shown]
	ds_read_b64 v[4:5], v7 offset:8
	ds_read_b32 v35, v48 offset:4
	s_waitcnt lgkmcnt(0)
	v_cmp_eq_f64_e64 s[12:13], v[2:3], v[4:5]
	v_cmp_gt_i32_e64 s[14:15], v34, v35
	v_cmp_lt_f64_e32 vcc, v[2:3], v[4:5]
	s_and_b64 s[12:13], s[12:13], s[14:15]
	s_or_b64 s[12:13], vcc, s[12:13]
	s_and_b64 exec, exec, s[12:13]
	s_cbranch_execz .LBB2_226
; %bb.225:                              ;   in Loop: Header=BB2_27 Depth=2
	ds_write_b64 v49, v[4:5]
	ds_write_b32 v50, v35 offset:4096
.LBB2_226:                              ;   in Loop: Header=BB2_27 Depth=2
	s_or_b64 exec, exec, s[22:23]
	v_pk_mov_b32 v[2:3], 0, 0
	s_and_saveexec_b64 s[14:15], s[8:9]
	s_cbranch_execz .LBB2_230
; %bb.227:                              ;   in Loop: Header=BB2_27 Depth=2
	s_mov_b64 s[22:23], 0
	v_pk_mov_b32 v[2:3], 0, 0
	v_pk_mov_b32 v[4:5], v[8:9], v[8:9] op_sel:[0,1]
	v_mov_b32_e32 v34, v0
.LBB2_228:                              ;   Parent Loop BB2_17 Depth=1
                                        ;     Parent Loop BB2_27 Depth=2
                                        ; =>    This Inner Loop Header: Depth=3
	global_load_dwordx2 v[36:37], v[4:5], off
	v_add_u32_e32 v34, 0x100, v34
	v_add_co_u32_e32 v4, vcc, 0x800, v4
	v_cmp_lt_i32_e64 s[12:13], s86, v34
	v_addc_co_u32_e32 v5, vcc, 0, v5, vcc
	s_or_b64 s[22:23], s[12:13], s[22:23]
	s_waitcnt vmcnt(0)
	v_fmac_f64_e32 v[2:3], v[36:37], v[36:37]
	s_andn2_b64 exec, exec, s[22:23]
	s_cbranch_execnz .LBB2_228
; %bb.229:                              ;   in Loop: Header=BB2_27 Depth=2
	s_or_b64 exec, exec, s[22:23]
.LBB2_230:                              ;   in Loop: Header=BB2_27 Depth=2
	s_or_b64 exec, exec, s[14:15]
	ds_write_b64 v7, v[2:3] offset:2048
	s_waitcnt lgkmcnt(0)
	s_barrier
	s_and_saveexec_b64 s[12:13], s[2:3]
	s_cbranch_execz .LBB2_232
; %bb.231:                              ;   in Loop: Header=BB2_27 Depth=2
	ds_read_b64 v[4:5], v7 offset:3072
	s_waitcnt lgkmcnt(0)
	v_add_f64 v[2:3], v[2:3], v[4:5]
.LBB2_232:                              ;   in Loop: Header=BB2_27 Depth=2
	s_or_b64 exec, exec, s[12:13]
	s_barrier
	s_and_saveexec_b64 s[12:13], s[2:3]
	s_cbranch_execz .LBB2_234
; %bb.233:                              ;   in Loop: Header=BB2_27 Depth=2
	ds_write_b64 v7, v[2:3] offset:2048
.LBB2_234:                              ;   in Loop: Header=BB2_27 Depth=2
	s_or_b64 exec, exec, s[12:13]
	s_waitcnt lgkmcnt(0)
	s_barrier
	s_and_saveexec_b64 s[12:13], s[4:5]
	s_cbranch_execz .LBB2_236
; %bb.235:                              ;   in Loop: Header=BB2_27 Depth=2
	ds_read2st64_b64 v[2:5], v7 offset0:4 offset1:5
	v_add_u32_e32 v34, 0x800, v7
	s_waitcnt lgkmcnt(0)
	v_add_f64 v[2:3], v[2:3], v[4:5]
	ds_write_b64 v7, v[2:3] offset:2048
	s_waitcnt vmcnt(0) lgkmcnt(0)
	buffer_wbinvl1_vol
	ds_read2_b64 v[2:5], v34 offset1:32
	s_waitcnt lgkmcnt(0)
	v_add_f64 v[2:3], v[2:3], v[4:5]
	ds_write_b64 v7, v[2:3] offset:2048
	s_waitcnt lgkmcnt(0)
	buffer_wbinvl1_vol
	ds_read2_b64 v[2:5], v34 offset1:16
	s_waitcnt lgkmcnt(0)
	v_add_f64 v[2:3], v[2:3], v[4:5]
	ds_write_b64 v7, v[2:3] offset:2048
	s_waitcnt lgkmcnt(0)
	;; [unrolled: 6-line block ×6, first 2 shown]
	buffer_wbinvl1_vol
.LBB2_236:                              ;   in Loop: Header=BB2_27 Depth=2
	s_or_b64 exec, exec, s[12:13]
	s_and_saveexec_b64 s[12:13], s[0:1]
	s_cbranch_execz .LBB2_238
; %bb.237:                              ;   in Loop: Header=BB2_27 Depth=2
	ds_read_b64 v[2:3], v54 offset:2048
	s_mov_b32 s10, 0
	s_brev_b32 s11, 8
	s_waitcnt lgkmcnt(0)
	v_cmp_gt_f64_e32 vcc, s[10:11], v[2:3]
	v_cndmask_b32_e64 v4, 0, 1, vcc
	v_lshlrev_b32_e32 v4, 8, v4
	v_ldexp_f64 v[2:3], v[2:3], v4
	v_rsq_f64_e32 v[4:5], v[2:3]
	s_and_b64 s[14:15], vcc, exec
	s_cselect_b32 s14, 0xffffff80, 0
	v_cmp_class_f64_e32 vcc, v[2:3], v51
	v_mul_f64 v[34:35], v[2:3], v[4:5]
	v_mul_f64 v[4:5], v[4:5], 0.5
	v_fma_f64 v[36:37], -v[4:5], v[34:35], 0.5
	v_fmac_f64_e32 v[34:35], v[34:35], v[36:37]
	v_fmac_f64_e32 v[4:5], v[4:5], v[36:37]
	v_fma_f64 v[36:37], -v[34:35], v[34:35], v[2:3]
	v_fmac_f64_e32 v[34:35], v[36:37], v[4:5]
	v_fma_f64 v[36:37], -v[34:35], v[34:35], v[2:3]
	v_fmac_f64_e32 v[34:35], v[36:37], v[4:5]
	v_ldexp_f64 v[4:5], v[34:35], s14
	v_cndmask_b32_e32 v3, v5, v3, vcc
	v_cndmask_b32_e32 v2, v4, v2, vcc
	ds_write_b64 v54, v[2:3] offset:2048
.LBB2_238:                              ;   in Loop: Header=BB2_27 Depth=2
	s_or_b64 exec, exec, s[12:13]
	s_waitcnt lgkmcnt(0)
	s_barrier
	ds_read_b32 v4, v54 offset:4096
	ds_read_b64 v[2:3], v54 offset:2048
	v_readlane_b32 s10, v64, 15
	v_mov_b32_e32 v7, s10
	v_readlane_b32 s10, v64, 14
	s_waitcnt lgkmcnt(0)
	v_ashrrev_i32_e32 v5, 31, v4
	v_lshlrev_b64 v[4:5], 3, v[4:5]
	v_add_co_u32_e32 v4, vcc, s10, v4
	v_addc_co_u32_e32 v5, vcc, v7, v5, vcc
	global_load_dwordx2 v[4:5], v[4:5], off
	s_barrier
	s_and_saveexec_b64 s[12:13], s[8:9]
	s_cbranch_execz .LBB2_241
; %bb.239:                              ;   in Loop: Header=BB2_27 Depth=2
	s_waitcnt vmcnt(0)
	v_cmp_nle_f64_e32 vcc, 0, v[4:5]
	s_and_b64 s[14:15], vcc, exec
	s_mov_b32 s10, 0xbff00000
	s_cselect_b32 s15, s10, 0x3ff00000
	s_mov_b32 s14, s17
	v_div_scale_f64 v[4:5], s[22:23], v[2:3], v[2:3], s[14:15]
	v_rcp_f64_e32 v[34:35], v[4:5]
	v_mov_b32_e32 v7, v0
	v_fma_f64 v[36:37], -v[4:5], v[34:35], 1.0
	v_fmac_f64_e32 v[34:35], v[34:35], v[36:37]
	v_fma_f64 v[36:37], -v[4:5], v[34:35], 1.0
	v_fmac_f64_e32 v[34:35], v[34:35], v[36:37]
	v_div_scale_f64 v[36:37], vcc, s[14:15], v[2:3], s[14:15]
	v_mul_f64 v[38:39], v[36:37], v[34:35]
	v_fma_f64 v[4:5], -v[4:5], v[38:39], v[36:37]
	s_nop 1
	v_div_fmas_f64 v[4:5], v[4:5], v[34:35], v[38:39]
	v_div_fixup_f64 v[2:3], v[4:5], v[2:3], s[14:15]
	s_mov_b64 s[14:15], 0
	v_pk_mov_b32 v[4:5], v[8:9], v[8:9] op_sel:[0,1]
.LBB2_240:                              ;   Parent Loop BB2_17 Depth=1
                                        ;     Parent Loop BB2_27 Depth=2
                                        ; =>    This Inner Loop Header: Depth=3
	global_load_dwordx2 v[34:35], v[4:5], off
	v_add_u32_e32 v7, 0x100, v7
	v_cmp_lt_i32_e32 vcc, s86, v7
	s_or_b64 s[14:15], vcc, s[14:15]
	s_waitcnt vmcnt(0)
	v_mul_f64 v[34:35], v[2:3], v[34:35]
	global_store_dwordx2 v[4:5], v[34:35], off
	v_add_co_u32_e32 v4, vcc, 0x800, v4
	v_addc_co_u32_e32 v5, vcc, 0, v5, vcc
	s_andn2_b64 exec, exec, s[14:15]
	s_cbranch_execnz .LBB2_240
.LBB2_241:                              ;   in Loop: Header=BB2_27 Depth=2
	s_or_b64 exec, exec, s[12:13]
	s_barrier
.LBB2_242:                              ;   in Loop: Header=BB2_27 Depth=2
	s_and_saveexec_b64 s[14:15], s[62:63]
	s_cbranch_execz .LBB2_26
; %bb.243:                              ;   in Loop: Header=BB2_27 Depth=2
	s_mov_b64 s[22:23], 0
	v_pk_mov_b32 v[2:3], v[32:33], v[32:33] op_sel:[0,1]
	v_mov_b32_e32 v7, v0
	s_branch .LBB2_245
.LBB2_244:                              ;   in Loop: Header=BB2_245 Depth=3
	s_or_b64 exec, exec, s[12:13]
	v_add_u32_e32 v34, s83, v7
	v_ashrrev_i32_e32 v35, 31, v34
	v_lshlrev_b64 v[34:35], 3, v[34:35]
	v_mov_b32_e32 v36, s56
	v_add_co_u32_e32 v34, vcc, s52, v34
	v_addc_co_u32_e32 v35, vcc, v36, v35, vcc
	v_add_u32_e32 v7, 0x100, v7
	v_add_co_u32_e32 v2, vcc, 0x800, v2
	v_cmp_le_i32_e64 s[12:13], s50, v7
	s_or_b64 s[22:23], s[12:13], s[22:23]
	v_addc_co_u32_e32 v3, vcc, 0, v3, vcc
	s_waitcnt vmcnt(0)
	global_store_dwordx2 v[34:35], v[4:5], off
	s_andn2_b64 exec, exec, s[22:23]
	s_cbranch_execz .LBB2_26
.LBB2_245:                              ;   Parent Loop BB2_17 Depth=1
                                        ;     Parent Loop BB2_27 Depth=2
                                        ; =>    This Inner Loop Header: Depth=3
	v_cmp_le_i32_e32 vcc, s82, v7
	v_cmp_gt_i32_e64 s[12:13], s84, v7
	s_and_b64 s[38:39], vcc, s[12:13]
	s_waitcnt vmcnt(0)
	v_pk_mov_b32 v[4:5], 0, 0
	s_and_saveexec_b64 s[12:13], s[38:39]
	s_cbranch_execz .LBB2_244
; %bb.246:                              ;   in Loop: Header=BB2_245 Depth=3
	global_load_dwordx2 v[4:5], v[2:3], off
	s_branch .LBB2_244
.LBB2_247:
	s_and_saveexec_b64 s[2:3], s[0:1]
	s_cbranch_execz .LBB2_249
; %bb.248:
	v_mov_b32_e32 v0, 0
	ds_read_b32 v1, v0
	v_readlane_b32 s0, v64, 0
	v_readlane_b32 s1, v64, 1
	s_add_u32 s0, s18, s0
	s_addc_u32 s1, s19, s1
	s_waitcnt lgkmcnt(0)
	s_nop 1
	global_store_dword v0, v1, s[0:1]
.LBB2_249:
	s_endpgm
	.section	.rodata,"a",@progbits
	.p2align	6, 0x0
	.amdhsa_kernel _ZN9rocsolver6v33100L12stein_kernelIddPdEEviPT0_lS4_lPiS4_lS5_lS5_lT1_iilS5_lS5_S4_S5_S3_S3_
		.amdhsa_group_segment_fixed_size 8
		.amdhsa_private_segment_fixed_size 0
		.amdhsa_kernarg_size 176
		.amdhsa_user_sgpr_count 6
		.amdhsa_user_sgpr_private_segment_buffer 1
		.amdhsa_user_sgpr_dispatch_ptr 0
		.amdhsa_user_sgpr_queue_ptr 0
		.amdhsa_user_sgpr_kernarg_segment_ptr 1
		.amdhsa_user_sgpr_dispatch_id 0
		.amdhsa_user_sgpr_flat_scratch_init 0
		.amdhsa_user_sgpr_kernarg_preload_length 0
		.amdhsa_user_sgpr_kernarg_preload_offset 0
		.amdhsa_user_sgpr_private_segment_size 0
		.amdhsa_uses_dynamic_stack 0
		.amdhsa_system_sgpr_private_segment_wavefront_offset 0
		.amdhsa_system_sgpr_workgroup_id_x 1
		.amdhsa_system_sgpr_workgroup_id_y 1
		.amdhsa_system_sgpr_workgroup_id_z 0
		.amdhsa_system_sgpr_workgroup_info 0
		.amdhsa_system_vgpr_workitem_id 0
		.amdhsa_next_free_vgpr 65
		.amdhsa_next_free_sgpr 96
		.amdhsa_accum_offset 68
		.amdhsa_reserve_vcc 1
		.amdhsa_reserve_flat_scratch 0
		.amdhsa_float_round_mode_32 0
		.amdhsa_float_round_mode_16_64 0
		.amdhsa_float_denorm_mode_32 3
		.amdhsa_float_denorm_mode_16_64 3
		.amdhsa_dx10_clamp 1
		.amdhsa_ieee_mode 1
		.amdhsa_fp16_overflow 0
		.amdhsa_tg_split 0
		.amdhsa_exception_fp_ieee_invalid_op 0
		.amdhsa_exception_fp_denorm_src 0
		.amdhsa_exception_fp_ieee_div_zero 0
		.amdhsa_exception_fp_ieee_overflow 0
		.amdhsa_exception_fp_ieee_underflow 0
		.amdhsa_exception_fp_ieee_inexact 0
		.amdhsa_exception_int_div_zero 0
	.end_amdhsa_kernel
	.section	.text._ZN9rocsolver6v33100L12stein_kernelIddPdEEviPT0_lS4_lPiS4_lS5_lS5_lT1_iilS5_lS5_S4_S5_S3_S3_,"axG",@progbits,_ZN9rocsolver6v33100L12stein_kernelIddPdEEviPT0_lS4_lPiS4_lS5_lS5_lT1_iilS5_lS5_S4_S5_S3_S3_,comdat
.Lfunc_end2:
	.size	_ZN9rocsolver6v33100L12stein_kernelIddPdEEviPT0_lS4_lPiS4_lS5_lS5_lT1_iilS5_lS5_S4_S5_S3_S3_, .Lfunc_end2-_ZN9rocsolver6v33100L12stein_kernelIddPdEEviPT0_lS4_lPiS4_lS5_lS5_lT1_iilS5_lS5_S4_S5_S3_S3_
                                        ; -- End function
	.section	.AMDGPU.csdata,"",@progbits
; Kernel info:
; codeLenInByte = 11260
; NumSgprs: 100
; NumVgprs: 65
; NumAgprs: 0
; TotalNumVgprs: 65
; ScratchSize: 0
; MemoryBound: 1
; FloatMode: 240
; IeeeMode: 1
; LDSByteSize: 8 bytes/workgroup (compile time only)
; SGPRBlocks: 12
; VGPRBlocks: 8
; NumSGPRsForWavesPerEU: 100
; NumVGPRsForWavesPerEU: 65
; AccumOffset: 68
; Occupancy: 7
; WaveLimiterHint : 1
; COMPUTE_PGM_RSRC2:SCRATCH_EN: 0
; COMPUTE_PGM_RSRC2:USER_SGPR: 6
; COMPUTE_PGM_RSRC2:TRAP_HANDLER: 0
; COMPUTE_PGM_RSRC2:TGID_X_EN: 1
; COMPUTE_PGM_RSRC2:TGID_Y_EN: 1
; COMPUTE_PGM_RSRC2:TGID_Z_EN: 0
; COMPUTE_PGM_RSRC2:TIDIG_COMP_CNT: 0
; COMPUTE_PGM_RSRC3_GFX90A:ACCUM_OFFSET: 16
; COMPUTE_PGM_RSRC3_GFX90A:TG_SPLIT: 0
	.section	.text._ZN9rocsolver6v33100L12stein_kernelI19rocblas_complex_numIfEfPS3_EEviPT0_lS6_lPiS6_lS7_lS7_lT1_iilS7_lS7_S6_S7_S5_S5_,"axG",@progbits,_ZN9rocsolver6v33100L12stein_kernelI19rocblas_complex_numIfEfPS3_EEviPT0_lS6_lPiS6_lS7_lS7_lT1_iilS7_lS7_S6_S7_S5_S5_,comdat
	.globl	_ZN9rocsolver6v33100L12stein_kernelI19rocblas_complex_numIfEfPS3_EEviPT0_lS6_lPiS6_lS7_lS7_lT1_iilS7_lS7_S6_S7_S5_S5_ ; -- Begin function _ZN9rocsolver6v33100L12stein_kernelI19rocblas_complex_numIfEfPS3_EEviPT0_lS6_lPiS6_lS7_lS7_lT1_iilS7_lS7_S6_S7_S5_S5_
	.p2align	8
	.type	_ZN9rocsolver6v33100L12stein_kernelI19rocblas_complex_numIfEfPS3_EEviPT0_lS6_lPiS6_lS7_lS7_lT1_iilS7_lS7_S6_S7_S5_S5_,@function
_ZN9rocsolver6v33100L12stein_kernelI19rocblas_complex_numIfEfPS3_EEviPT0_lS6_lPiS6_lS7_lS7_lT1_iilS7_lS7_S6_S7_S5_S5_: ; @_ZN9rocsolver6v33100L12stein_kernelI19rocblas_complex_numIfEfPS3_EEviPT0_lS6_lPiS6_lS7_lS7_lT1_iilS7_lS7_S6_S7_S5_S5_
; %bb.0:
	s_load_dwordx16 s[8:23], s[4:5], 0x8
	s_mov_b32 s54, s7
	s_ashr_i32 s55, s7, 31
	s_lshl_b64 s[2:3], s[54:55], 2
	s_waitcnt lgkmcnt(0)
	s_add_u32 s0, s16, s2
	s_addc_u32 s1, s17, s3
	s_load_dword s48, s[0:1], 0x0
	s_waitcnt lgkmcnt(0)
	s_cmp_lt_i32 s48, 1
	s_cbranch_scc1 .LBB3_270
; %bb.1:
	s_load_dwordx8 s[36:43], s[4:5], 0x70
	s_load_dwordx4 s[44:47], s[4:5], 0x90
                                        ; implicit-def: $vgpr52 : SGPR spill to VGPR lane
	s_mov_b64 s[28:29], 0
	v_writelane_b32 v52, s2, 0
	v_writelane_b32 v52, s3, 1
	s_waitcnt lgkmcnt(0)
	s_cmp_eq_u64 s[38:39], 0
	s_cbranch_scc1 .LBB3_3
; %bb.2:
	s_mul_i32 s0, s54, s41
	s_mul_hi_u32 s1, s54, s40
	s_add_i32 s0, s1, s0
	s_mul_i32 s1, s55, s40
	s_add_i32 s1, s0, s1
	s_mul_i32 s0, s54, s40
	s_lshl_b64 s[0:1], s[0:1], 2
	s_add_u32 s28, s38, s0
	s_addc_u32 s29, s39, s1
.LBB3_3:
	v_cmp_eq_u32_e64 s[0:1], 0, v0
	s_and_saveexec_b64 s[2:3], s[0:1]
	s_cbranch_execz .LBB3_5
; %bb.4:
	v_mov_b32_e32 v1, 0
	ds_write_b32 v1, v1
.LBB3_5:
	s_or_b64 exec, exec, s[2:3]
	s_cmp_lg_u64 s[28:29], 0
	s_cselect_b64 s[6:7], -1, 0
	v_cmp_gt_u32_e32 vcc, s48, v0
	s_and_b64 s[2:3], vcc, s[6:7]
	s_and_saveexec_b64 s[16:17], s[2:3]
	s_cbranch_execz .LBB3_13
; %bb.6:
	v_or_b32_e32 v1, 0x100, v0
	v_max_i32_e32 v2, s48, v1
	v_xad_u32 v3, v0, -1, v2
	s_movk_i32 s2, 0x2ff
	v_cmp_lt_u32_e32 vcc, s2, v3
	s_mov_b64 s[2:3], -1
	v_mov_b32_e32 v2, v0
	s_and_saveexec_b64 s[26:27], vcc
	s_cbranch_execz .LBB3_10
; %bb.7:
	v_lshrrev_b32_e32 v2, 8, v3
	v_add_u32_e32 v6, 1, v2
	v_and_b32_e32 v7, 0x1fffffc, v6
	s_mov_b64 s[24:25], 0
	v_mov_b32_e32 v8, s29
	v_mov_b32_e32 v3, 0
	;; [unrolled: 1-line block ×3, first 2 shown]
	v_pk_mov_b32 v[4:5], v[0:1], v[0:1] op_sel:[0,1]
.LBB3_8:                                ; =>This Inner Loop Header: Depth=1
	v_mov_b32_e32 v2, v4
	v_lshlrev_b64 v[14:15], 2, v[2:3]
	v_add_u32_e32 v12, 0x200, v4
	v_mov_b32_e32 v13, v3
	v_add_co_u32_e64 v14, s[2:3], s28, v14
	v_lshlrev_b64 v[12:13], 2, v[12:13]
	v_addc_co_u32_e64 v15, s[2:3], v8, v15, s[2:3]
	v_add_u32_e32 v10, 0x200, v5
	v_mov_b32_e32 v11, v3
	v_add_u32_e32 v9, -4, v9
	v_mov_b32_e32 v2, v5
	v_add_co_u32_e64 v12, s[2:3], s28, v12
	v_lshlrev_b64 v[10:11], 2, v[10:11]
	v_cmp_eq_u32_e32 vcc, 0, v9
	v_lshlrev_b64 v[16:17], 2, v[2:3]
	v_addc_co_u32_e64 v13, s[2:3], v8, v13, s[2:3]
	v_add_u32_e32 v4, 0x400, v4
	v_add_u32_e32 v5, 0x400, v5
	v_add_co_u32_e64 v10, s[2:3], s28, v10
	s_or_b64 s[24:25], vcc, s[24:25]
	v_add_co_u32_e32 v16, vcc, s28, v16
	v_addc_co_u32_e64 v11, s[2:3], v8, v11, s[2:3]
	v_addc_co_u32_e32 v17, vcc, v8, v17, vcc
	flat_store_dword v[14:15], v3
	flat_store_dword v[16:17], v3
	flat_store_dword v[12:13], v3
	flat_store_dword v[10:11], v3
	s_andn2_b64 exec, exec, s[24:25]
	s_cbranch_execnz .LBB3_8
; %bb.9:
	s_or_b64 exec, exec, s[24:25]
	v_cmp_ne_u32_e32 vcc, v6, v7
	v_lshl_or_b32 v2, v7, 8, v0
	s_orn2_b64 s[2:3], vcc, exec
.LBB3_10:
	s_or_b64 exec, exec, s[26:27]
	s_and_b64 exec, exec, s[2:3]
	s_cbranch_execz .LBB3_13
; %bb.11:
	v_mov_b32_e32 v3, 0
	v_lshlrev_b64 v[4:5], 2, v[2:3]
	v_mov_b32_e32 v1, s29
	v_add_co_u32_e32 v4, vcc, s28, v4
	v_addc_co_u32_e32 v5, vcc, v1, v5, vcc
	s_mov_b64 s[24:25], 0
.LBB3_12:                               ; =>This Inner Loop Header: Depth=1
	v_add_u32_e32 v2, 0x100, v2
	flat_store_dword v[4:5], v3
	v_add_co_u32_e32 v4, vcc, 0x400, v4
	v_cmp_le_i32_e64 s[2:3], s48, v2
	s_or_b64 s[24:25], s[2:3], s[24:25]
	v_addc_co_u32_e32 v5, vcc, 0, v5, vcc
	s_andn2_b64 exec, exec, s[24:25]
	s_cbranch_execnz .LBB3_12
.LBB3_13:
	v_writelane_b32 v52, s28, 2
	v_writelane_b32 v52, s29, 3
	;; [unrolled: 1-line block ×10, first 2 shown]
	s_or_b64 exec, exec, s[16:17]
	s_load_dwordx8 s[36:43], s[4:5], 0x48
	s_mov_b32 s27, 0
	s_mov_b32 s49, s27
	v_mov_b32_e32 v3, 0
	s_waitcnt lgkmcnt(0)
	s_mul_i32 s3, s54, s37
	s_mul_hi_u32 s16, s54, s36
	s_mul_i32 s17, s55, s36
	s_add_i32 s3, s16, s3
	s_mul_i32 s2, s54, s36
	s_add_i32 s3, s3, s17
	s_lshl_b64 s[2:3], s[2:3], 2
	s_add_u32 s33, s22, s2
	s_addc_u32 s62, s23, s3
	s_lshl_b64 s[2:3], s[48:49], 2
	s_add_u32 s2, s33, s2
	s_addc_u32 s3, s62, s3
	v_writelane_b32 v52, s2, 12
	v_writelane_b32 v52, s3, 13
	s_nop 3
	global_load_dword v14, v3, s[2:3] offset:-4
	s_waitcnt vmcnt(0)
	v_cmp_gt_i32_e32 vcc, 1, v14
	s_cbranch_vccnz .LBB3_268
; %bb.14:
	s_load_dword s28, s[4:5], 0x0
	s_mul_i32 s2, s54, s11
	s_mul_hi_u32 s3, s54, s10
	s_add_i32 s2, s3, s2
	s_mul_i32 s3, s55, s10
	s_add_i32 s3, s2, s3
	s_mul_i32 s2, s54, s10
	s_waitcnt lgkmcnt(0)
	s_ashr_i32 s29, s28, 31
	s_lshl_b64 s[2:3], s[2:3], 2
	s_add_u32 s26, s8, s2
	s_addc_u32 s30, s9, s3
	s_mul_i32 s2, s54, s15
	s_mul_hi_u32 s3, s54, s14
	s_add_i32 s2, s3, s2
	s_mul_i32 s3, s55, s14
	s_add_i32 s3, s2, s3
	s_mul_i32 s2, s54, s14
	s_lshl_b64 s[2:3], s[2:3], 2
	s_add_u32 s31, s12, s2
	s_addc_u32 s34, s13, s3
	s_mul_i32 s2, s54, s21
	s_mul_hi_u32 s3, s54, s20
	s_add_i32 s2, s3, s2
	s_mul_i32 s3, s55, s20
	s_add_i32 s3, s2, s3
	s_mul_i32 s2, s54, s20
	;; [unrolled: 9-line block ×3, first 2 shown]
	s_load_dwordx2 s[36:37], s[4:5], 0x68
	s_load_dwordx2 s[52:53], s[4:5], 0xa0
	s_mul_i32 s4, s28, 5
	s_lshl_b64 s[2:3], s[2:3], 2
	s_add_u32 s35, s38, s2
	s_mul_hi_i32 s5, s4, s54
	s_mul_i32 s4, s4, s54
	s_addc_u32 s22, s39, s3
	s_lshl_b64 s[10:11], s[4:5], 2
	s_add_u32 s20, s44, s10
	s_mul_hi_i32 s3, s28, s54
	s_mul_i32 s2, s28, s54
	v_readlane_b32 s12, v52, 4
	s_addc_u32 s21, s45, s11
	s_lshl_b64 s[2:3], s[2:3], 2
	v_readlane_b32 s13, v52, 5
	s_add_u32 s60, s46, s2
	s_mul_i32 s8, s54, s13
	s_mul_hi_u32 s9, s54, s12
	s_addc_u32 s61, s47, s3
	s_add_i32 s8, s9, s8
	s_mul_i32 s9, s55, s12
	s_add_i32 s9, s8, s9
	s_mul_i32 s8, s54, s12
	s_waitcnt lgkmcnt(0)
	s_ashr_i32 s3, s36, 31
	s_lshl_b64 s[8:9], s[8:9], 3
	s_mov_b32 s2, s36
	s_add_u32 s8, s42, s8
	v_readlane_b32 s18, v52, 10
	s_addc_u32 s9, s43, s9
	s_lshl_b64 s[2:3], s[2:3], 3
	v_readlane_b32 s19, v52, 11
	s_add_u32 s36, s8, s2
	s_mul_i32 s18, s28, 3
	s_addc_u32 s49, s9, s3
	s_ashr_i32 s19, s18, 31
	s_lshl_b64 s[12:13], s[18:19], 2
	s_add_u32 s38, s20, s12
	s_addc_u32 s39, s21, s13
	s_lshl_b64 s[8:9], s[28:29], 3
	s_sub_u32 s40, s38, s8
	s_subb_u32 s41, s39, s9
	s_lshl_b64 s[2:3], s[28:29], 2
	s_add_u32 s42, s40, s2
	s_addc_u32 s43, s41, s3
	v_readlane_b32 s14, v52, 6
	s_add_u32 s46, s42, s8
	s_addc_u32 s47, s43, s9
	v_lshlrev_b32_e32 v2, 2, v0
	s_add_i32 s14, 8, 0x800
	v_readlane_b32 s15, v52, 7
	v_readlane_b32 s16, v52, 8
	;; [unrolled: 1-line block ×3, first 2 shown]
	v_max_f32_e64 v1, s52, s52
	v_add_u32_e32 v32, s14, v2
	s_mul_i32 s14, s28, -12
	v_max_f32_e32 v30, 0, v1
	s_mul_hi_i32 s16, s28, -12
	s_add_u32 s17, s46, s14
	v_div_scale_f32 v1, s[14:15], s53, s53, 1.0
	s_addc_u32 s14, s47, s16
	s_add_u32 s54, s17, 4
	s_addc_u32 s55, s14, 0
	s_and_b64 s[6:7], s[0:1], s[6:7]
	v_writelane_b32 v52, s6, 14
	v_writelane_b32 v52, s7, 15
	s_add_u32 s6, s35, -4
	v_writelane_b32 v52, s6, 16
	s_addc_u32 s6, s22, -1
	s_add_u32 s51, s26, -4
	v_writelane_b32 v52, s22, 17
	s_addc_u32 s73, s30, -1
	v_writelane_b32 v52, s6, 18
	s_add_u32 s6, s31, -8
	v_writelane_b32 v52, s6, 19
	s_addc_u32 s6, s34, -1
	v_writelane_b32 v52, s6, 20
	s_add_u32 s6, s20, -4
	v_writelane_b32 v52, s6, 21
	s_addc_u32 s6, s21, -1
	v_writelane_b32 v52, s6, 22
	s_add_u32 s6, s31, 4
	v_rcp_f32_e32 v4, v1
	v_writelane_b32 v52, s6, 23
	s_addc_u32 s6, s34, 0
	v_writelane_b32 v52, s6, 24
	s_add_u32 s6, s26, 4
	v_writelane_b32 v52, s6, 25
	s_addc_u32 s6, s30, 0
	v_writelane_b32 v52, s6, 26
	s_add_u32 s6, s10, s12
	v_fma_f32 v5, -v1, v4, 1.0
	s_addc_u32 s7, s11, s13
	v_fmac_f32_e32 v4, v5, v4
	v_div_scale_f32 v5, vcc, 1.0, s53, 1.0
	s_add_u32 s6, s6, s44
	v_mul_f32_e32 v6, v5, v4
	s_addc_u32 s7, s7, s45
	s_lshl_b32 s63, s28, 1
	v_fma_f32 v7, -v1, v6, v5
	s_add_u32 s58, s6, 8
	v_fmac_f32_e32 v6, v7, v4
	s_addc_u32 s59, s7, 0
	v_fma_f32 v1, -v1, v6, v5
	s_add_u32 s4, s4, s18
	v_div_fmas_f32 v1, v1, v4, v6
	v_mov_b32_e32 v9, s21
	v_add_co_u32_e32 v8, vcc, s20, v2
	v_writelane_b32 v52, s18, 27
	s_addc_u32 s5, s5, s19
	v_addc_co_u32_e32 v9, vcc, 0, v9, vcc
	v_add_u32_e32 v12, s28, v0
	v_writelane_b32 v52, s19, 28
	s_lshl_b64 s[4:5], s[4:5], 2
	v_mov_b32_e32 v11, s7
	v_add_co_u32_e32 v10, vcc, s6, v2
	v_ashrrev_i32_e32 v13, 31, v12
	s_sub_u32 s4, s4, s8
	v_writelane_b32 v52, s26, 29
	v_addc_co_u32_e32 v11, vcc, 0, v11, vcc
	v_lshlrev_b64 v[12:13], 2, v[12:13]
	s_subb_u32 s5, s5, s9
	v_writelane_b32 v52, s30, 30
	v_add_u32_e32 v31, 8, v2
	v_pk_mov_b32 v[6:7], v[2:3], v[2:3] op_sel:[0,1]
	v_mov_b32_e32 v2, s21
	v_add_co_u32_e32 v12, vcc, s20, v12
	s_add_u32 s4, s4, s44
	v_writelane_b32 v52, s31, 31
	v_addc_co_u32_e32 v2, vcc, v2, v13, vcc
	s_addc_u32 s5, s5, s45
	v_writelane_b32 v52, s34, 32
	s_movk_i32 s2, 0x80
	v_div_fixup_f32 v4, v1, s53, 1.0
	v_add_co_u32_e32 v12, vcc, 4, v12
	s_add_u32 s44, s4, 8
	s_mov_b32 s64, 0xff800000
	v_writelane_b32 v52, s35, 33
	v_cmp_gt_u32_e64 s[2:3], s2, v0
	v_not_b32_e32 v33, v0
	v_or_b32_e32 v1, 0x100, v0
	v_mov_b32_e32 v5, v4
	v_addc_co_u32_e32 v13, vcc, 0, v2, vcc
	s_addc_u32 s45, s5, 0
	s_brev_b32 s23, -2
	v_mov_b32_e32 v34, 0x260
	v_mov_b32_e32 v35, 1.0
	s_mov_b32 s76, 0x5e4789c9
	s_mov_b32 s77, 0xbc8f
	s_movk_i32 s82, 0xf2b9
	s_mov_b32 s83, 0x4f7a09cd
	s_mov_b32 s56, 0x9ef4
	v_mov_b32_e32 v36, 1
	v_mov_b32_e32 v37, 8
	s_movk_i32 s57, 0xf131
	s_movk_i32 s22, 0x400
	s_mov_b32 s50, 0
	v_cmp_gt_u32_e64 s[4:5], 64, v0
	v_cmp_gt_i32_e64 s[6:7], s28, v0
	s_mov_b32 s65, 0x41dfffff
	s_mov_b32 s66, s27
	v_writelane_b32 v52, s51, 34
                                        ; implicit-def: $vgpr38
                                        ; implicit-def: $vgpr42
                                        ; implicit-def: $vgpr41
                                        ; implicit-def: $vgpr39
                                        ; implicit-def: $sgpr29
	v_writelane_b32 v52, s73, 35
	s_branch .LBB3_17
.LBB3_15:                               ;   in Loop: Header=BB3_17 Depth=1
	v_readlane_b32 s8, v52, 12
	v_readlane_b32 s9, v52, 13
	s_mov_b32 s50, s18
	v_readlane_b32 s26, v52, 29
	v_readlane_b32 s30, v52, 30
	v_readlane_b32 s31, v52, 31
	v_readlane_b32 s34, v52, 32
	global_load_dword v14, v3, s[8:9] offset:-4
	v_readlane_b32 s35, v52, 33
	v_readlane_b32 s51, v52, 34
	;; [unrolled: 1-line block ×3, first 2 shown]
.LBB3_16:                               ;   in Loop: Header=BB3_17 Depth=1
	s_add_i32 s66, s66, 1
	s_waitcnt vmcnt(0)
	v_cmp_ge_i32_e32 vcc, s66, v14
	s_cbranch_vccnz .LBB3_268
.LBB3_17:                               ; =>This Loop Header: Depth=1
                                        ;     Child Loop BB3_23 Depth 2
                                        ;     Child Loop BB3_28 Depth 2
                                        ;       Child Loop BB3_39 Depth 3
                                        ;       Child Loop BB3_42 Depth 3
	;; [unrolled: 1-line block ×5, first 2 shown]
                                        ;         Child Loop BB3_112 Depth 4
                                        ;         Child Loop BB3_118 Depth 4
	;; [unrolled: 1-line block ×5, first 2 shown]
                                        ;           Child Loop BB3_138 Depth 5
                                        ;         Child Loop BB3_156 Depth 4
                                        ;           Child Loop BB3_157 Depth 5
                                        ;           Child Loop BB3_159 Depth 5
                                        ;         Child Loop BB3_164 Depth 4
                                        ;       Child Loop BB3_205 Depth 3
                                        ;       Child Loop BB3_242 Depth 3
	;; [unrolled: 1-line block ×5, first 2 shown]
	s_cmp_eq_u32 s66, 0
	s_mov_b32 s68, 0
	s_cbranch_scc1 .LBB3_19
; %bb.18:                               ;   in Loop: Header=BB3_17 Depth=1
	s_mov_b32 s67, s27
	s_lshl_b64 s[8:9], s[66:67], 2
	v_readlane_b32 s10, v52, 16
	s_add_u32 s8, s10, s8
	v_readlane_b32 s10, v52, 18
	s_addc_u32 s9, s10, s9
	global_load_dword v2, v3, s[8:9]
	s_mov_b64 s[8:9], s[66:67]
	s_waitcnt vmcnt(0)
	v_readfirstlane_b32 s68, v2
	s_branch .LBB3_20
.LBB3_19:                               ;   in Loop: Header=BB3_17 Depth=1
	s_mov_b64 s[8:9], 0
.LBB3_20:                               ;   in Loop: Header=BB3_17 Depth=1
	s_lshl_b64 s[8:9], s[8:9], 2
	s_add_u32 s8, s35, s8
	v_readlane_b32 s10, v52, 17
	s_addc_u32 s9, s10, s9
	global_load_dword v2, v3, s[8:9]
	s_not_b32 s8, s68
	s_waitcnt vmcnt(0)
	v_readfirstlane_b32 s70, v2
	s_add_i32 s72, s8, s70
	s_cmp_lt_i32 s72, 1
	s_cselect_b64 s[74:75], -1, 0
	v_subrev_u32_e32 v40, s68, v2
	s_and_b64 vcc, exec, s[74:75]
	s_cbranch_vccnz .LBB3_25
; %bb.21:                               ;   in Loop: Header=BB3_17 Depth=1
	s_ashr_i32 s69, s68, 31
	s_lshl_b64 s[8:9], s[68:69], 2
	s_add_u32 s10, s26, s8
	s_addc_u32 s11, s30, s9
	s_add_u32 s14, s31, s8
	s_addc_u32 s15, s34, s9
	s_ashr_i32 s71, s70, 31
	s_lshl_b64 s[16:17], s[70:71], 2
	s_add_u32 s18, s51, s16
	s_addc_u32 s19, s73, s17
	s_add_i32 s12, s70, -2
	v_readlane_b32 s13, v52, 19
	s_add_u32 s16, s13, s16
	v_readlane_b32 s13, v52, 20
	s_addc_u32 s17, s13, s17
	global_load_dword v15, v3, s[10:11]
	global_load_dword v2, v3, s[14:15]
	;; [unrolled: 1-line block ×4, first 2 shown]
	s_cmp_ge_i32 s68, s12
	s_waitcnt vmcnt(3)
	v_and_b32_e32 v16, 0x7fffffff, v15
	s_waitcnt vmcnt(2)
	v_and_b32_e32 v18, 0x7fffffff, v2
	;; [unrolled: 2-line block ×4, first 2 shown]
	v_pk_add_f32 v[16:17], v[16:17], v[18:19]
	v_cmp_lt_f32_e32 vcc, v16, v17
	v_cndmask_b32_e32 v39, v16, v17, vcc
	s_cbranch_scc1 .LBB3_24
; %bb.22:                               ;   in Loop: Header=BB3_17 Depth=1
	v_readlane_b32 s10, v52, 23
	s_add_u32 s10, s10, s8
	v_readlane_b32 s11, v52, 24
	s_addc_u32 s11, s11, s9
	v_readlane_b32 s13, v52, 25
	s_add_u32 s8, s13, s8
	v_readlane_b32 s13, v52, 26
	s_addc_u32 s9, s13, s9
	s_mov_b32 s13, s68
.LBB3_23:                               ;   Parent Loop BB3_17 Depth=1
                                        ; =>  This Inner Loop Header: Depth=2
	global_load_dword v15, v3, s[8:9]
	s_add_i32 s13, s13, 1
	s_waitcnt vmcnt(0)
	v_add_f32_e64 v15, |v2|, |v15|
	global_load_dword v2, v3, s[10:11]
	s_add_u32 s10, s10, 4
	s_addc_u32 s11, s11, 0
	s_add_u32 s8, s8, 4
	s_addc_u32 s9, s9, 0
	s_cmp_lt_i32 s13, s12
	s_waitcnt vmcnt(0)
	v_add_f32_e64 v15, v15, |v2|
	v_cmp_lt_f32_e32 vcc, v39, v15
	v_cndmask_b32_e32 v39, v39, v15, vcc
	s_cbranch_scc1 .LBB3_23
.LBB3_24:                               ;   in Loop: Header=BB3_17 Depth=1
	s_mov_b32 s10, 0x9999999a
	v_cvt_f64_u32_e32 v[16:17], v40
	s_mov_b32 s11, 0x3fb99999
	v_div_scale_f64 v[18:19], s[8:9], v[16:17], v[16:17], s[10:11]
	v_rcp_f64_e32 v[20:21], v[18:19]
	v_div_scale_f64 v[22:23], vcc, s[10:11], v[16:17], s[10:11]
	s_mov_b32 s8, 0
	v_fma_f64 v[24:25], -v[18:19], v[20:21], 1.0
	v_fmac_f64_e32 v[20:21], v[20:21], v[24:25]
	v_fma_f64 v[24:25], -v[18:19], v[20:21], 1.0
	v_fmac_f64_e32 v[20:21], v[20:21], v[24:25]
	v_mul_f64 v[24:25], v[22:23], v[20:21]
	v_fma_f64 v[18:19], -v[18:19], v[24:25], v[22:23]
	v_div_fmas_f64 v[18:19], v[18:19], v[20:21], v[24:25]
	v_div_fixup_f64 v[16:17], v[18:19], v[16:17], s[10:11]
	s_brev_b32 s9, 8
	v_cmp_gt_f64_e32 vcc, s[8:9], v[16:17]
	v_cndmask_b32_e64 v2, 0, 1, vcc
	v_lshlrev_b32_e32 v2, 8, v2
	v_ldexp_f64 v[16:17], v[16:17], v2
	v_rsq_f64_e32 v[18:19], v[16:17]
	s_and_b64 s[8:9], vcc, exec
	s_cselect_b32 s8, 0xffffff80, 0
	v_cmp_class_f64_e32 vcc, v[16:17], v34
	v_mul_f64 v[20:21], v[16:17], v[18:19]
	v_mul_f64 v[18:19], v[18:19], 0.5
	v_fma_f64 v[22:23], -v[18:19], v[20:21], 0.5
	v_fmac_f64_e32 v[20:21], v[20:21], v[22:23]
	v_fma_f64 v[24:25], -v[20:21], v[20:21], v[16:17]
	v_fmac_f64_e32 v[18:19], v[18:19], v[22:23]
	v_fmac_f64_e32 v[20:21], v[24:25], v[18:19]
	v_fma_f64 v[22:23], -v[20:21], v[20:21], v[16:17]
	v_fmac_f64_e32 v[20:21], v[22:23], v[18:19]
	v_ldexp_f64 v[18:19], v[20:21], s8
	v_cndmask_b32_e32 v17, v19, v17, vcc
	v_cndmask_b32_e32 v16, v18, v16, vcc
	v_mul_f32_e32 v41, 0x3a83126f, v39
	v_cvt_f32_f64_e32 v42, v[16:17]
	s_mov_b32 s29, s50
.LBB3_25:                               ;   in Loop: Header=BB3_17 Depth=1
	s_cmp_ge_i32 s50, s48
	s_cbranch_scc1 .LBB3_16
; %bb.26:                               ;   in Loop: Header=BB3_17 Depth=1
	s_ashr_i32 s71, s70, 31
	s_lshl_b64 s[12:13], s[70:71], 2
	s_add_u32 s12, s51, s12
	s_addc_u32 s13, s73, s13
	v_writelane_b32 v52, s12, 36
	v_writelane_b32 v52, s13, 37
	v_readlane_b32 s12, v52, 27
	v_readlane_b32 s13, v52, 28
	s_add_i32 s12, s72, s12
	s_ashr_i32 s13, s12, 31
	s_lshl_b64 s[12:13], s[12:13], 2
	s_add_u32 s78, s20, s12
	s_mov_b32 s73, s27
	s_addc_u32 s79, s21, s13
	s_lshl_b64 s[12:13], s[72:73], 2
	s_add_u32 s80, s60, s12
	v_cvt_f32_u32_e32 v2, v40
	s_addc_u32 s81, s61, s13
	s_add_i32 s67, s72, -1
	s_add_u32 s12, s38, s12
	s_addc_u32 s13, s39, s13
	v_add_u32_e32 v16, s68, v0
	v_writelane_b32 v52, s12, 38
	v_mul_f32_e32 v43, v39, v2
	v_add_u32_e32 v2, s70, v33
	v_ashrrev_i32_e32 v17, 31, v16
	v_writelane_b32 v52, s13, 39
	v_subrev_u32_e32 v2, s68, v2
	s_movk_i32 s12, 0xff
	v_lshlrev_b64 v[18:19], 2, v[16:17]
	v_lshrrev_b32_e32 v14, 8, v2
	v_cmp_lt_u32_e64 s[12:13], s12, v2
	v_mov_b32_e32 v2, s30
	v_add_co_u32_e32 v16, vcc, s26, v18
	s_cmp_lg_u32 s72, 1
	v_addc_co_u32_e32 v17, vcc, v2, v19, vcc
	s_cselect_b64 s[84:85], -1, 0
	v_mov_b32_e32 v2, s34
	v_add_co_u32_e32 v18, vcc, s31, v18
	s_ashr_i32 s69, s68, 31
	v_add_u32_e32 v15, 1, v14
	v_addc_co_u32_e32 v19, vcc, v2, v19, vcc
	s_lshl_b64 s[16:17], s[68:69], 2
	v_and_b32_e32 v44, 0x1fffffe, v15
	v_mov_b32_e32 v2, s17
	v_subrev_co_u32_e32 v20, vcc, s16, v8
	v_cmp_ge_i32_e64 s[8:9], s72, v0
	v_cmp_gt_i32_e64 s[10:11], s72, v0
	v_lshl_or_b32 v14, v44, 8, v0
	v_cmp_ne_u32_e64 s[14:15], v15, v44
	s_sub_i32 s71, s70, s68
	v_subb_co_u32_e32 v21, vcc, v9, v2, vcc
	s_mul_i32 s69, s37, s50
	s_mov_b32 s73, 0
	v_mov_b32_e32 v2, v38
	s_mov_b32 s86, s50
	s_branch .LBB3_28
.LBB3_27:                               ;   in Loop: Header=BB3_28 Depth=2
	s_or_b64 exec, exec, s[18:19]
	s_add_i32 s73, s73, 1
	s_add_i32 s86, s86, 1
	;; [unrolled: 1-line block ×3, first 2 shown]
	s_cmp_ge_i32 s86, s48
	s_cselect_b64 s[16:17], -1, 0
	s_mov_b32 s18, s50
	s_waitcnt vmcnt(0)
	v_mov_b32_e32 v2, v38
	s_barrier
	s_and_b64 vcc, exec, s[16:17]
	s_cbranch_vccnz .LBB3_15
.LBB3_28:                               ;   Parent Loop BB3_17 Depth=1
                                        ; =>  This Loop Header: Depth=2
                                        ;       Child Loop BB3_39 Depth 3
                                        ;       Child Loop BB3_42 Depth 3
	;; [unrolled: 1-line block ×5, first 2 shown]
                                        ;         Child Loop BB3_112 Depth 4
                                        ;         Child Loop BB3_118 Depth 4
	;; [unrolled: 1-line block ×5, first 2 shown]
                                        ;           Child Loop BB3_138 Depth 5
                                        ;         Child Loop BB3_156 Depth 4
                                        ;           Child Loop BB3_157 Depth 5
                                        ;           Child Loop BB3_159 Depth 5
                                        ;         Child Loop BB3_164 Depth 4
                                        ;       Child Loop BB3_205 Depth 3
                                        ;       Child Loop BB3_242 Depth 3
	;; [unrolled: 1-line block ×5, first 2 shown]
	s_ashr_i32 s87, s86, 31
	s_lshl_b64 s[16:17], s[86:87], 2
	s_add_u32 s18, s33, s16
	s_addc_u32 s19, s62, s17
	global_load_dword v15, v3, s[18:19]
	s_waitcnt vmcnt(0)
	v_add_u32_e32 v15, -1, v15
	v_cmp_ne_u32_e32 vcc, s66, v15
	s_cbranch_vccnz .LBB3_33
; %bb.29:                               ;   in Loop: Header=BB3_28 Depth=2
	s_add_u32 s16, s24, s16
	s_addc_u32 s17, s25, s17
	global_load_dword v38, v3, s[16:17]
	s_and_b64 vcc, exec, s[74:75]
	s_cbranch_vccz .LBB3_34
; %bb.30:                               ;   in Loop: Header=BB3_28 Depth=2
	s_and_saveexec_b64 s[16:17], s[0:1]
	s_cbranch_execz .LBB3_32
; %bb.31:                               ;   in Loop: Header=BB3_28 Depth=2
	global_store_dword v3, v35, s[20:21]
.LBB3_32:                               ;   in Loop: Header=BB3_28 Depth=2
	s_or_b64 exec, exec, s[16:17]
	s_barrier
	s_branch .LBB3_263
.LBB3_33:                               ;   in Loop: Header=BB3_28 Depth=2
                                        ; implicit-def: $sgpr73
                                        ; implicit-def: $sgpr69
	s_mov_b32 s18, s86
	v_mov_b32_e32 v38, v2
	s_cbranch_execz .LBB3_28
	s_branch .LBB3_15
.LBB3_34:                               ;   in Loop: Header=BB3_28 Depth=2
	s_cbranch_execz .LBB3_263
; %bb.35:                               ;   in Loop: Header=BB3_28 Depth=2
	s_mul_i32 s16, s66, s48
	s_add_i32 s16, s86, s16
	v_lshl_or_b32 v22, s16, 8, v0
	v_add_u32_e32 v15, 1, v22
	s_mov_b32 s16, 0x40000001
	v_mul_hi_i32 v23, v15, s16
	v_lshrrev_b32_e32 v24, 31, v23
	v_ashrrev_i32_e32 v23, 29, v23
	v_add_u32_e32 v23, v23, v24
	v_mul_lo_u32 v23, v23, s23
	v_sub_u32_e32 v15, v15, v23
	v_max_i32_e32 v15, 1, v15
	s_mov_b32 s16, 0x7ffffffe
	v_cmp_ne_u32_e32 vcc, s16, v22
	v_mov_b32_e32 v24, v15
	s_and_saveexec_b64 s[16:17], vcc
; %bb.36:                               ;   in Loop: Header=BB3_28 Depth=2
	v_sub_u32_e32 v22, 0x7ffffffe, v22
	s_mov_b32 s18, 0x4000007d
	v_mul_hi_i32 v23, v22, s18
	v_lshrrev_b32_e32 v24, 31, v23
	v_ashrrev_i32_e32 v23, 29, v23
	v_add_u32_e32 v23, v23, v24
	s_mov_b32 s18, 0x7fffff07
	v_mul_lo_u32 v23, v23, s18
	v_sub_u32_e32 v22, v22, v23
	v_max_i32_e32 v24, 1, v22
; %bb.37:                               ;   in Loop: Header=BB3_28 Depth=2
	s_or_b64 exec, exec, s[16:17]
	s_and_saveexec_b64 s[16:17], s[8:9]
	s_cbranch_execz .LBB3_40
; %bb.38:                               ;   in Loop: Header=BB3_28 Depth=2
	s_mov_b64 s[18:19], 0
	v_pk_mov_b32 v[22:23], v[8:9], v[8:9] op_sel:[0,1]
	v_mov_b32_e32 v25, v0
.LBB3_39:                               ;   Parent Loop BB3_17 Depth=1
                                        ;     Parent Loop BB3_28 Depth=2
                                        ; =>    This Inner Loop Header: Depth=3
	v_mul_hi_i32 v26, v15, s76
	v_mul_hi_i32 v27, v24, s83
	v_lshrrev_b32_e32 v28, 31, v26
	v_ashrrev_i32_e32 v26, 14, v26
	v_lshrrev_b32_e32 v29, 31, v27
	v_ashrrev_i32_e32 v27, 14, v27
	v_add_u32_e32 v26, v26, v28
	v_add_u32_e32 v27, v27, v29
	v_mul_i32_i24_e32 v28, 0xadc8, v26
	v_mul_i32_i24_e32 v29, 0xce26, v27
	v_sub_u32_e32 v15, v15, v28
	v_sub_u32_e32 v24, v24, v29
	v_mul_lo_u32 v15, v15, s77
	v_mul_lo_u32 v24, v24, s56
	v_mad_i32_i24 v15, v26, s82, v15
	v_mad_i32_i24 v24, v27, s57, v24
	v_ashrrev_i32_e32 v26, 31, v15
	v_ashrrev_i32_e32 v27, 31, v24
	v_and_b32_e32 v26, 0x7fffffff, v26
	v_and_b32_e32 v27, 0x7fffff07, v27
	v_add_u32_e32 v15, v26, v15
	v_add_u32_e32 v24, v27, v24
	v_sub_u32_e32 v26, v15, v24
	v_ashrrev_i32_e32 v27, 31, v26
	v_and_b32_e32 v27, 0x7fffffff, v27
	v_add_u32_e32 v26, v27, v26
	v_cvt_f64_i32_e32 v[26:27], v26
	v_div_scale_f64 v[28:29], s[30:31], s[64:65], s[64:65], v[26:27]
	v_rcp_f64_e32 v[48:49], v[28:29]
	v_add_u32_e32 v25, 0x100, v25
	v_cmp_lt_i32_e32 vcc, s72, v25
	s_or_b64 s[18:19], vcc, s[18:19]
	v_fma_f64 v[50:51], -v[28:29], v[48:49], 1.0
	v_fmac_f64_e32 v[48:49], v[48:49], v[50:51]
	v_fma_f64 v[50:51], -v[28:29], v[48:49], 1.0
	v_div_scale_f64 v[46:47], vcc, v[26:27], s[64:65], v[26:27]
	v_fmac_f64_e32 v[48:49], v[48:49], v[50:51]
	v_mul_f64 v[50:51], v[46:47], v[48:49]
	v_fma_f64 v[28:29], -v[28:29], v[50:51], v[46:47]
	s_nop 0
	v_div_fmas_f64 v[28:29], v[28:29], v[48:49], v[50:51]
	v_div_fixup_f64 v[26:27], v[28:29], s[64:65], v[26:27]
	v_cvt_f32_f64_e32 v26, v[26:27]
	global_store_dword v[22:23], v26, off
	v_add_co_u32_e32 v22, vcc, 0x400, v22
	v_addc_co_u32_e32 v23, vcc, 0, v23, vcc
	s_andn2_b64 exec, exec, s[18:19]
	s_cbranch_execnz .LBB3_39
.LBB3_40:                               ;   in Loop: Header=BB3_28 Depth=2
	s_or_b64 exec, exec, s[16:17]
	s_and_saveexec_b64 s[88:89], s[10:11]
	s_cbranch_execz .LBB3_43
; %bb.41:                               ;   in Loop: Header=BB3_28 Depth=2
	s_mov_b64 s[90:91], 0
	v_pk_mov_b32 v[22:23], v[18:19], v[18:19] op_sel:[0,1]
	v_pk_mov_b32 v[24:25], v[16:17], v[16:17] op_sel:[0,1]
	;; [unrolled: 1-line block ×4, first 2 shown]
	v_mov_b32_e32 v15, v0
.LBB3_42:                               ;   Parent Loop BB3_17 Depth=1
                                        ;     Parent Loop BB3_28 Depth=2
                                        ; =>    This Inner Loop Header: Depth=3
	global_load_dword v45, v[24:25], off
	v_add_u32_e32 v46, s63, v15
	v_add_u32_e32 v15, 0x100, v15
	v_ashrrev_i32_e32 v47, 31, v46
	v_cmp_le_i32_e32 vcc, s72, v15
	v_lshlrev_b64 v[46:47], 2, v[46:47]
	v_mov_b32_e32 v48, s21
	s_or_b64 s[90:91], vcc, s[90:91]
	v_add_co_u32_e32 v46, vcc, s20, v46
	v_addc_co_u32_e32 v47, vcc, v48, v47, vcc
	s_waitcnt vmcnt(0)
	global_store_dword v[28:29], v45, off
	global_load_dword v45, v[22:23], off
	v_add_co_u32_e32 v28, vcc, s22, v28
	v_addc_co_u32_e32 v29, vcc, 0, v29, vcc
	s_waitcnt vmcnt(0)
	global_store_dword v[46:47], v45, off
	global_store_dword v[26:27], v45, off
	v_add_co_u32_e32 v26, vcc, s22, v26
	s_mov_b64 s[16:17], vcc
	v_add_co_u32_e32 v24, vcc, 0x400, v24
	s_mov_b64 s[18:19], vcc
	v_addc_co_u32_e64 v27, vcc, 0, v27, s[16:17]
	v_add_co_u32_e32 v22, vcc, 0x400, v22
	v_addc_co_u32_e64 v25, s[16:17], 0, v25, s[18:19]
	v_addc_co_u32_e32 v23, vcc, 0, v23, vcc
	s_andn2_b64 exec, exec, s[90:91]
	s_cbranch_execnz .LBB3_42
.LBB3_43:                               ;   in Loop: Header=BB3_28 Depth=2
	s_or_b64 exec, exec, s[88:89]
	s_and_saveexec_b64 s[16:17], s[0:1]
	s_cbranch_execz .LBB3_45
; %bb.44:                               ;   in Loop: Header=BB3_28 Depth=2
	v_readlane_b32 s18, v52, 36
	v_readlane_b32 s19, v52, 37
	s_nop 4
	global_load_dword v15, v3, s[18:19]
	s_waitcnt vmcnt(0)
	global_store_dword v3, v15, s[78:79]
.LBB3_45:                               ;   in Loop: Header=BB3_28 Depth=2
	s_or_b64 exec, exec, s[16:17]
	s_waitcnt vmcnt(0)
	v_mul_f32_e32 v15, s52, v38
	s_mov_b32 s16, 0x41200000
	v_mul_f32_e64 v22, |v15|, s16
	v_sub_f32_e32 v23, v38, v2
	s_cmp_eq_u32 s73, 0
	v_fma_f32 v15, |v15|, s16, v2
	v_cmp_lt_f32_e32 vcc, v23, v22
	v_cndmask_b32_e32 v15, v38, v15, vcc
	s_cselect_b64 vcc, -1, 0
	s_cmp_lg_u32 s73, 0
	s_cselect_b64 s[88:89], -1, 0
	v_cndmask_b32_e32 v38, v15, v38, vcc
	s_barrier
	s_and_saveexec_b64 s[16:17], s[0:1]
	s_cbranch_execz .LBB3_72
; %bb.46:                               ;   in Loop: Header=BB3_28 Depth=2
	global_load_dword v15, v3, s[38:39]
	s_mov_b64 s[18:19], 0
	s_mov_b32 s26, 1
	global_store_dword v3, v3, s[80:81]
	s_waitcnt vmcnt(1)
	v_sub_f32_e32 v15, v15, v38
	global_store_dword v3, v15, s[38:39]
	global_load_dword v22, v3, s[40:41] offset:4
	s_waitcnt vmcnt(0)
	v_add_f32_e64 v15, |v15|, |v22|
	s_branch .LBB3_48
.LBB3_47:                               ;   in Loop: Header=BB3_48 Depth=3
	s_add_u32 s18, s18, 4
	s_addc_u32 s19, s19, 0
	s_add_i32 s26, s26, 1
	s_cmp_eq_u32 s71, s26
	s_cbranch_scc1 .LBB3_69
.LBB3_48:                               ;   Parent Loop BB3_17 Depth=1
                                        ;     Parent Loop BB3_28 Depth=2
                                        ; =>    This Inner Loop Header: Depth=3
	s_add_i32 s30, s26, -1
	s_add_u32 s94, s38, s18
	s_addc_u32 s95, s39, s19
	global_load_dword v22, v3, s[94:95] offset:4
	s_add_u32 s92, s42, s18
	s_addc_u32 s93, s43, s19
	s_cmp_lt_i32 s30, s67
	s_cselect_b64 s[90:91], -1, 0
	s_cmp_ge_i32 s30, s67
	s_waitcnt vmcnt(0)
	v_sub_f32_e32 v24, v22, v38
	global_store_dword v3, v24, s[94:95] offset:4
	global_load_dword v25, v3, s[92:93]
	s_waitcnt vmcnt(0)
	v_add_f32_e64 v22, |v24|, |v25|
	s_cbranch_scc1 .LBB3_50
; %bb.49:                               ;   in Loop: Header=BB3_48 Depth=3
	s_add_u32 s30, s40, s18
	s_addc_u32 s31, s41, s19
	global_load_dword v23, v3, s[30:31] offset:8
	s_waitcnt vmcnt(0)
	v_add_f32_e64 v22, v22, |v23|
.LBB3_50:                               ;   in Loop: Header=BB3_48 Depth=3
	global_load_dword v27, v3, s[94:95]
	v_mov_b32_e32 v23, 0
	s_waitcnt vmcnt(0)
	v_cmp_eq_f32_e32 vcc, 0, v27
	s_cbranch_vccnz .LBB3_52
; %bb.51:                               ;   in Loop: Header=BB3_48 Depth=3
	v_and_b32_e32 v23, 0x7fffffff, v27
	v_div_scale_f32 v26, s[30:31], v15, v15, v23
	v_rcp_f32_e32 v28, v26
	v_div_scale_f32 v23, vcc, v23, v15, v23
	v_fma_f32 v29, -v26, v28, 1.0
	v_fmac_f32_e32 v28, v29, v28
	v_mul_f32_e32 v29, v23, v28
	v_fma_f32 v45, -v26, v29, v23
	v_fmac_f32_e32 v29, v45, v28
	v_fma_f32 v23, -v26, v29, v23
	v_div_fmas_f32 v23, v23, v28, v29
	v_div_fixup_f32 v23, v23, v15, |v27|
.LBB3_52:                               ;   in Loop: Header=BB3_48 Depth=3
	v_cmp_neq_f32_e32 vcc, 0, v25
	s_cbranch_vccz .LBB3_57
; %bb.53:                               ;   in Loop: Header=BB3_48 Depth=3
	v_and_b32_e32 v26, 0x7fffffff, v25
	v_div_scale_f32 v28, s[30:31], v22, v22, v26
	v_rcp_f32_e32 v29, v28
	v_div_scale_f32 v26, vcc, v26, v22, v26
	s_add_u32 s30, s60, s18
	v_fma_f32 v45, -v28, v29, 1.0
	v_fmac_f32_e32 v29, v45, v29
	v_mul_f32_e32 v45, v26, v29
	v_fma_f32 v46, -v28, v45, v26
	v_fmac_f32_e32 v45, v46, v29
	v_fma_f32 v26, -v28, v45, v26
	v_div_fmas_f32 v26, v26, v29, v45
	v_div_fixup_f32 v26, v26, v22, |v25|
	v_cmp_nle_f32_e32 vcc, v26, v23
	s_addc_u32 s31, s61, s19
	s_cbranch_vccnz .LBB3_58
; %bb.54:                               ;   in Loop: Header=BB3_48 Depth=3
	v_div_scale_f32 v28, s[34:35], v27, v27, v25
	v_rcp_f32_e32 v29, v28
	v_div_scale_f32 v45, vcc, v25, v27, v25
	s_add_u32 s34, s40, s18
	v_fma_f32 v46, -v28, v29, 1.0
	v_fmac_f32_e32 v29, v46, v29
	v_mul_f32_e32 v46, v45, v29
	v_fma_f32 v47, -v28, v46, v45
	v_fmac_f32_e32 v46, v47, v29
	v_fma_f32 v28, -v28, v46, v45
	v_div_fmas_f32 v28, v28, v29, v46
	v_div_fixup_f32 v28, v28, v27, v25
	global_store_dword v3, v28, s[92:93]
	s_addc_u32 s35, s41, s19
	global_load_dword v29, v3, s[94:95] offset:4
	global_load_dword v45, v3, s[34:35] offset:4
	s_andn2_b64 vcc, exec, s[90:91]
	global_store_dword v3, v3, s[30:31]
	s_waitcnt vmcnt(1)
	v_fma_f32 v28, -v28, v45, v29
	global_store_dword v3, v28, s[94:95] offset:4
	s_cbranch_vccnz .LBB3_56
; %bb.55:                               ;   in Loop: Header=BB3_48 Depth=3
	s_add_u32 s34, s46, s18
	s_addc_u32 s35, s47, s19
	global_store_dword v3, v3, s[34:35]
.LBB3_56:                               ;   in Loop: Header=BB3_48 Depth=3
	v_mov_b32_e32 v28, v22
	s_cbranch_execz .LBB3_59
	s_branch .LBB3_62
.LBB3_57:                               ;   in Loop: Header=BB3_48 Depth=3
                                        ; implicit-def: $vgpr26
                                        ; implicit-def: $vgpr15
	s_branch .LBB3_63
.LBB3_58:                               ;   in Loop: Header=BB3_48 Depth=3
	v_mov_b32_e32 v28, v22
.LBB3_59:                               ;   in Loop: Header=BB3_48 Depth=3
	s_add_u32 s34, s40, s18
	global_store_dword v3, v25, s[94:95]
	s_addc_u32 s35, s41, s19
	global_load_dword v28, v3, s[34:35] offset:4
	v_div_scale_f32 v46, vcc, v27, v25, v27
	global_store_dword v3, v36, s[30:31]
	v_div_scale_f32 v29, s[30:31], v25, v25, v27
	v_rcp_f32_e32 v45, v29
	v_fma_f32 v47, -v29, v45, 1.0
	v_fmac_f32_e32 v45, v47, v45
	v_mul_f32_e32 v47, v46, v45
	v_fma_f32 v48, -v29, v47, v46
	v_fmac_f32_e32 v47, v48, v45
	v_fma_f32 v29, -v29, v47, v46
	v_div_fmas_f32 v29, v29, v45, v47
	v_div_fixup_f32 v25, v29, v25, v27
	s_andn2_b64 vcc, exec, s[90:91]
	s_waitcnt vmcnt(1)
	v_fma_f32 v27, -v24, v25, v28
	global_store_dword v3, v27, s[94:95] offset:4
	s_cbranch_vccnz .LBB3_61
; %bb.60:                               ;   in Loop: Header=BB3_48 Depth=3
	global_load_dword v27, v3, s[34:35] offset:8
	s_add_u32 s30, s46, s18
	s_addc_u32 s31, s47, s19
	s_waitcnt vmcnt(0)
	global_store_dword v3, v27, s[30:31]
	v_mul_f32_e64 v27, v27, -v25
	global_store_dword v3, v27, s[34:35] offset:8
.LBB3_61:                               ;   in Loop: Header=BB3_48 Depth=3
	v_mov_b32_e32 v28, v15
	global_store_dword v3, v24, s[34:35] offset:4
	global_store_dword v3, v25, s[92:93]
.LBB3_62:                               ;   in Loop: Header=BB3_48 Depth=3
	v_mov_b32_e32 v15, v28
	s_cbranch_execnz .LBB3_66
.LBB3_63:                               ;   in Loop: Header=BB3_48 Depth=3
	s_add_u32 s30, s60, s18
	s_addc_u32 s31, s61, s19
	s_andn2_b64 vcc, exec, s[90:91]
	global_store_dword v3, v3, s[30:31]
	s_cbranch_vccnz .LBB3_65
; %bb.64:                               ;   in Loop: Header=BB3_48 Depth=3
	s_add_u32 s30, s46, s18
	s_addc_u32 s31, s47, s19
	global_store_dword v3, v3, s[30:31]
.LBB3_65:                               ;   in Loop: Header=BB3_48 Depth=3
	v_mov_b32_e32 v26, 0
	v_mov_b32_e32 v15, v22
.LBB3_66:                               ;   in Loop: Header=BB3_48 Depth=3
	v_max_f32_e32 v22, v26, v26
	v_max_f32_e32 v23, v23, v23
	;; [unrolled: 1-line block ×3, first 2 shown]
	v_cmp_nle_f32_e32 vcc, v22, v30
	s_cbranch_vccnz .LBB3_47
; %bb.67:                               ;   in Loop: Header=BB3_48 Depth=3
	global_load_dword v22, v3, s[80:81]
	s_waitcnt vmcnt(0)
	v_cmp_ne_u32_e32 vcc, 0, v22
	s_cbranch_vccnz .LBB3_47
; %bb.68:                               ;   in Loop: Header=BB3_48 Depth=3
	v_mov_b32_e32 v22, s26
	global_store_dword v3, v22, s[80:81]
	s_branch .LBB3_47
.LBB3_69:                               ;   in Loop: Header=BB3_28 Depth=2
	v_readlane_b32 s18, v52, 38
	v_readlane_b32 s19, v52, 39
	v_mul_f32_e32 v15, v30, v15
	s_nop 3
	global_load_dword v22, v3, s[18:19]
	s_waitcnt vmcnt(0)
	v_cmp_le_f32_e64 s[18:19], |v22|, v15
	s_and_b64 vcc, exec, s[18:19]
	s_cbranch_vccz .LBB3_72
; %bb.70:                               ;   in Loop: Header=BB3_28 Depth=2
	global_load_dword v15, v3, s[80:81]
	s_waitcnt vmcnt(0)
	v_cmp_ne_u32_e32 vcc, 0, v15
	s_cbranch_vccnz .LBB3_72
; %bb.71:                               ;   in Loop: Header=BB3_28 Depth=2
	global_store_dword v3, v40, s[80:81]
.LBB3_72:                               ;   in Loop: Header=BB3_28 Depth=2
	s_or_b64 exec, exec, s[16:17]
	v_sub_f32_e32 v2, v38, v2
	v_cmp_gt_f32_e64 s[90:91], |v2|, v41
	s_mov_b32 s87, 0
	s_mov_b32 s51, 0
	v_bfrev_b32_e32 v15, -2
	v_mov_b32_e32 v2, 0
	s_and_saveexec_b64 s[30:31], s[8:9]
	s_cbranch_execz .LBB3_76
.LBB3_73:                               ;   in Loop: Header=BB3_28 Depth=2
	s_mov_b64 s[92:93], 0
	v_bfrev_b32_e32 v15, -2
	v_mov_b32_e32 v2, 0
	v_pk_mov_b32 v[22:23], v[8:9], v[8:9] op_sel:[0,1]
	v_mov_b32_e32 v24, v0
.LBB3_74:                               ;   Parent Loop BB3_17 Depth=1
                                        ;     Parent Loop BB3_28 Depth=2
                                        ; =>    This Inner Loop Header: Depth=3
	global_load_dword v25, v[22:23], off
	v_add_co_u32_e32 v22, vcc, 0x400, v22
	v_cmp_eq_u32_e64 s[16:17], s23, v15
	v_add_u32_e32 v26, 1, v24
	v_add_u32_e32 v24, 0x100, v24
	v_addc_co_u32_e32 v23, vcc, 0, v23, vcc
	v_cmp_lt_i32_e64 s[18:19], s72, v24
	s_waitcnt vmcnt(0)
	v_cmp_lt_f32_e64 s[34:35], v2, |v25|
	s_or_b64 vcc, s[34:35], s[16:17]
	v_cndmask_b32_e64 v2, v2, |v25|, vcc
	s_or_b64 s[92:93], s[18:19], s[92:93]
	v_cndmask_b32_e32 v15, v15, v26, vcc
	s_andn2_b64 exec, exec, s[92:93]
	s_cbranch_execnz .LBB3_74
; %bb.75:                               ;   in Loop: Header=BB3_28 Depth=2
	s_or_b64 exec, exec, s[92:93]
.LBB3_76:                               ;   Parent Loop BB3_17 Depth=1
                                        ;     Parent Loop BB3_28 Depth=2
                                        ; =>    This Loop Header: Depth=3
                                        ;         Child Loop BB3_112 Depth 4
                                        ;         Child Loop BB3_118 Depth 4
	;; [unrolled: 1-line block ×5, first 2 shown]
                                        ;           Child Loop BB3_138 Depth 5
                                        ;         Child Loop BB3_156 Depth 4
                                        ;           Child Loop BB3_157 Depth 5
                                        ;           Child Loop BB3_159 Depth 5
                                        ;         Child Loop BB3_164 Depth 4
	s_or_b64 exec, exec, s[30:31]
	ds_write2st64_b32 v31, v2, v15 offset1:8
	s_waitcnt lgkmcnt(0)
	s_barrier
	s_and_saveexec_b64 s[18:19], s[2:3]
	s_cbranch_execz .LBB3_82
; %bb.77:                               ;   in Loop: Header=BB3_76 Depth=3
	ds_read_b32 v22, v31 offset:512
	ds_read_b32 v23, v32 offset:512
	s_waitcnt lgkmcnt(1)
	v_cmp_lt_f32_e64 s[30:31], v2, v22
	v_cmp_nlt_f32_e32 vcc, v2, v22
	s_and_saveexec_b64 s[34:35], vcc
	s_cbranch_execz .LBB3_79
; %bb.78:                               ;   in Loop: Header=BB3_76 Depth=3
	v_cmp_eq_f32_e32 vcc, v2, v22
	s_waitcnt lgkmcnt(0)
	v_cmp_gt_i32_e64 s[16:17], v15, v23
	s_and_b64 s[16:17], vcc, s[16:17]
	s_andn2_b64 s[30:31], s[30:31], exec
	s_and_b64 s[16:17], s[16:17], exec
	s_or_b64 s[30:31], s[30:31], s[16:17]
.LBB3_79:                               ;   in Loop: Header=BB3_76 Depth=3
	s_or_b64 exec, exec, s[34:35]
	s_and_saveexec_b64 s[16:17], s[30:31]
	s_cbranch_execz .LBB3_81
; %bb.80:                               ;   in Loop: Header=BB3_76 Depth=3
	s_waitcnt lgkmcnt(0)
	v_mov_b32_e32 v15, v23
	v_mov_b32_e32 v2, v22
	ds_write2st64_b32 v31, v22, v23 offset1:8
.LBB3_81:                               ;   in Loop: Header=BB3_76 Depth=3
	s_or_b64 exec, exec, s[16:17]
.LBB3_82:                               ;   in Loop: Header=BB3_76 Depth=3
	s_or_b64 exec, exec, s[18:19]
	s_waitcnt lgkmcnt(0)
	s_barrier
	s_and_saveexec_b64 s[92:93], s[4:5]
	s_cbranch_execz .LBB3_109
; %bb.83:                               ;   in Loop: Header=BB3_76 Depth=3
	ds_read_b32 v22, v31 offset:256
	ds_read_b32 v23, v32 offset:256
	s_waitcnt lgkmcnt(1)
	v_cmp_lt_f32_e64 s[18:19], v2, v22
	v_cmp_nlt_f32_e32 vcc, v2, v22
	s_and_saveexec_b64 s[30:31], vcc
	s_cbranch_execz .LBB3_85
; %bb.84:                               ;   in Loop: Header=BB3_76 Depth=3
	v_cmp_eq_f32_e32 vcc, v2, v22
	s_waitcnt lgkmcnt(0)
	v_cmp_gt_i32_e64 s[16:17], v15, v23
	s_and_b64 s[16:17], vcc, s[16:17]
	s_andn2_b64 s[18:19], s[18:19], exec
	s_and_b64 s[16:17], s[16:17], exec
	s_or_b64 s[18:19], s[18:19], s[16:17]
.LBB3_85:                               ;   in Loop: Header=BB3_76 Depth=3
	s_or_b64 exec, exec, s[30:31]
	s_and_saveexec_b64 s[16:17], s[18:19]
	s_cbranch_execz .LBB3_87
; %bb.86:                               ;   in Loop: Header=BB3_76 Depth=3
	v_mov_b32_e32 v2, v22
	s_waitcnt lgkmcnt(0)
	v_mov_b32_e32 v15, v23
	ds_write2st64_b32 v31, v22, v23 offset1:8
.LBB3_87:                               ;   in Loop: Header=BB3_76 Depth=3
	s_or_b64 exec, exec, s[16:17]
	ds_read_b32 v22, v31 offset:128
	s_waitcnt lgkmcnt(1)
	ds_read_b32 v23, v32 offset:128
	s_waitcnt lgkmcnt(1)
	v_cmp_lt_f32_e64 s[18:19], v2, v22
	v_cmp_nlt_f32_e32 vcc, v2, v22
	s_and_saveexec_b64 s[30:31], vcc
	s_cbranch_execz .LBB3_89
; %bb.88:                               ;   in Loop: Header=BB3_76 Depth=3
	v_cmp_eq_f32_e32 vcc, v2, v22
	s_waitcnt lgkmcnt(0)
	v_cmp_gt_i32_e64 s[16:17], v15, v23
	s_and_b64 s[16:17], vcc, s[16:17]
	s_andn2_b64 s[18:19], s[18:19], exec
	s_and_b64 s[16:17], s[16:17], exec
	s_or_b64 s[18:19], s[18:19], s[16:17]
.LBB3_89:                               ;   in Loop: Header=BB3_76 Depth=3
	s_or_b64 exec, exec, s[30:31]
	s_and_saveexec_b64 s[16:17], s[18:19]
	s_cbranch_execz .LBB3_91
; %bb.90:                               ;   in Loop: Header=BB3_76 Depth=3
	v_mov_b32_e32 v2, v22
	s_waitcnt lgkmcnt(0)
	v_mov_b32_e32 v15, v23
	ds_write2st64_b32 v31, v22, v23 offset1:8
.LBB3_91:                               ;   in Loop: Header=BB3_76 Depth=3
	s_or_b64 exec, exec, s[16:17]
	ds_read_b32 v22, v31 offset:64
	s_waitcnt lgkmcnt(1)
	;; [unrolled: 27-line block ×4, first 2 shown]
	ds_read_b32 v23, v32 offset:16
	s_waitcnt lgkmcnt(1)
	v_cmp_lt_f32_e64 s[18:19], v2, v22
	v_cmp_nlt_f32_e32 vcc, v2, v22
	s_and_saveexec_b64 s[30:31], vcc
	s_cbranch_execz .LBB3_101
; %bb.100:                              ;   in Loop: Header=BB3_76 Depth=3
	v_cmp_eq_f32_e32 vcc, v2, v22
	s_waitcnt lgkmcnt(0)
	v_cmp_gt_i32_e64 s[16:17], v15, v23
	s_and_b64 s[16:17], vcc, s[16:17]
	s_andn2_b64 s[18:19], s[18:19], exec
	s_and_b64 s[16:17], s[16:17], exec
	s_or_b64 s[18:19], s[18:19], s[16:17]
.LBB3_101:                              ;   in Loop: Header=BB3_76 Depth=3
	s_or_b64 exec, exec, s[30:31]
	s_and_saveexec_b64 s[16:17], s[18:19]
	s_cbranch_execz .LBB3_103
; %bb.102:                              ;   in Loop: Header=BB3_76 Depth=3
	v_mov_b32_e32 v2, v22
	s_waitcnt lgkmcnt(0)
	v_mov_b32_e32 v15, v23
	ds_write2st64_b32 v31, v22, v23 offset1:8
.LBB3_103:                              ;   in Loop: Header=BB3_76 Depth=3
	s_or_b64 exec, exec, s[16:17]
	ds_read_b32 v22, v31 offset:8
	s_waitcnt lgkmcnt(1)
	ds_read_b32 v23, v32 offset:8
	s_waitcnt lgkmcnt(1)
	v_cmp_lt_f32_e64 s[18:19], v2, v22
	v_cmp_nlt_f32_e32 vcc, v2, v22
	s_and_saveexec_b64 s[30:31], vcc
	s_cbranch_execz .LBB3_105
; %bb.104:                              ;   in Loop: Header=BB3_76 Depth=3
	v_cmp_eq_f32_e32 vcc, v2, v22
	s_waitcnt lgkmcnt(0)
	v_cmp_gt_i32_e64 s[16:17], v15, v23
	s_and_b64 s[16:17], vcc, s[16:17]
	s_andn2_b64 s[18:19], s[18:19], exec
	s_and_b64 s[16:17], s[16:17], exec
	s_or_b64 s[18:19], s[18:19], s[16:17]
.LBB3_105:                              ;   in Loop: Header=BB3_76 Depth=3
	s_or_b64 exec, exec, s[30:31]
	s_and_saveexec_b64 s[16:17], s[18:19]
	s_cbranch_execz .LBB3_107
; %bb.106:                              ;   in Loop: Header=BB3_76 Depth=3
	v_mov_b32_e32 v2, v22
	s_waitcnt lgkmcnt(0)
	v_mov_b32_e32 v15, v23
	ds_write2st64_b32 v31, v22, v23 offset1:8
.LBB3_107:                              ;   in Loop: Header=BB3_76 Depth=3
	s_or_b64 exec, exec, s[16:17]
	ds_read_b32 v22, v31 offset:4
	s_waitcnt lgkmcnt(1)
	ds_read_b32 v23, v32 offset:4
	s_waitcnt lgkmcnt(1)
	v_cmp_eq_f32_e64 s[16:17], v2, v22
	s_waitcnt lgkmcnt(0)
	v_cmp_gt_i32_e64 s[18:19], v15, v23
	v_cmp_lt_f32_e32 vcc, v2, v22
	s_and_b64 s[16:17], s[16:17], s[18:19]
	s_or_b64 s[16:17], vcc, s[16:17]
	s_and_b64 exec, exec, s[16:17]
	s_cbranch_execz .LBB3_109
; %bb.108:                              ;   in Loop: Header=BB3_76 Depth=3
	ds_write2st64_b32 v31, v22, v23 offset1:8
.LBB3_109:                              ;   in Loop: Header=BB3_76 Depth=3
	s_or_b64 exec, exec, s[92:93]
	s_waitcnt lgkmcnt(0)
	s_barrier
	s_and_saveexec_b64 s[16:17], s[8:9]
	s_cbranch_execz .LBB3_119
; %bb.110:                              ;   in Loop: Header=BB3_76 Depth=3
	global_load_dword v2, v3, s[78:79]
	ds_read_b32 v22, v37
	v_mov_b32_e32 v15, s52
	s_mov_b64 s[30:31], -1
	s_waitcnt vmcnt(0)
	v_cmp_gt_f32_e64 s[18:19], |v2|, s52
	v_cndmask_b32_e64 v2, v15, |v2|, s[18:19]
	v_mul_f32_e32 v15, v43, v2
	s_waitcnt lgkmcnt(0)
	v_div_scale_f32 v23, s[18:19], v22, v22, v15
	v_rcp_f32_e32 v24, v23
	v_div_scale_f32 v25, vcc, v15, v22, v15
	v_mov_b32_e32 v2, v0
	v_fma_f32 v26, -v23, v24, 1.0
	v_fmac_f32_e32 v24, v26, v24
	v_mul_f32_e32 v26, v25, v24
	v_fma_f32 v27, -v23, v26, v25
	v_fmac_f32_e32 v26, v27, v24
	v_fma_f32 v23, -v23, v26, v25
	v_div_fmas_f32 v23, v23, v24, v26
	v_div_fixup_f32 v22, v23, v22, v15
	v_pk_mov_b32 v[24:25], v[6:7], v[6:7] op_sel:[0,1]
	s_and_saveexec_b64 s[18:19], s[12:13]
	s_cbranch_execz .LBB3_116
; %bb.111:                              ;   in Loop: Header=BB3_76 Depth=3
	v_mov_b32_e32 v23, v22
	s_mov_b64 s[30:31], 0
	v_mov_b32_e32 v15, v44
	v_pk_mov_b32 v[24:25], v[0:1], v[0:1] op_sel:[0,1]
.LBB3_112:                              ;   Parent Loop BB3_17 Depth=1
                                        ;     Parent Loop BB3_28 Depth=2
                                        ;       Parent Loop BB3_76 Depth=3
                                        ; =>      This Inner Loop Header: Depth=4
	v_mov_b32_e32 v2, v24
	v_lshlrev_b64 v[26:27], 2, v[2:3]
	v_mov_b32_e32 v45, s21
	v_mov_b32_e32 v2, v25
	v_add_co_u32_e32 v26, vcc, s20, v26
	v_lshlrev_b64 v[28:29], 2, v[2:3]
	v_addc_co_u32_e32 v27, vcc, v45, v27, vcc
	v_add_co_u32_e32 v28, vcc, s20, v28
	v_addc_co_u32_e32 v29, vcc, v45, v29, vcc
	global_load_dword v46, v[26:27], off
	global_load_dword v47, v[28:29], off
	v_add_u32_e32 v15, -2, v15
	v_cmp_eq_u32_e32 vcc, 0, v15
	v_add_u32_e32 v24, 0x200, v24
	v_add_u32_e32 v25, 0x200, v25
	s_or_b64 s[30:31], vcc, s[30:31]
	s_waitcnt vmcnt(0)
	v_pk_mul_f32 v[46:47], v[22:23], v[46:47]
	global_store_dword v[26:27], v46, off
	global_store_dword v[28:29], v47, off
	s_andn2_b64 exec, exec, s[30:31]
	s_cbranch_execnz .LBB3_112
; %bb.113:                              ;   in Loop: Header=BB3_76 Depth=3
	s_or_b64 exec, exec, s[30:31]
	s_mov_b64 s[30:31], 0
                                        ; implicit-def: $vgpr24_vgpr25
	s_and_saveexec_b64 s[34:35], s[14:15]
; %bb.114:                              ;   in Loop: Header=BB3_76 Depth=3
	v_mov_b32_e32 v15, v3
	s_mov_b64 s[30:31], exec
	v_lshlrev_b64 v[24:25], 2, v[14:15]
; %bb.115:                              ;   in Loop: Header=BB3_76 Depth=3
	s_or_b64 exec, exec, s[34:35]
	s_orn2_b64 s[30:31], s[30:31], exec
	v_mov_b32_e32 v2, v14
.LBB3_116:                              ;   in Loop: Header=BB3_76 Depth=3
	s_or_b64 exec, exec, s[18:19]
	s_and_b64 exec, exec, s[30:31]
	s_cbranch_execz .LBB3_119
; %bb.117:                              ;   in Loop: Header=BB3_76 Depth=3
	v_mov_b32_e32 v15, s21
	v_add_co_u32_e32 v24, vcc, s20, v24
	v_addc_co_u32_e32 v25, vcc, v15, v25, vcc
	s_mov_b64 s[18:19], 0
.LBB3_118:                              ;   Parent Loop BB3_17 Depth=1
                                        ;     Parent Loop BB3_28 Depth=2
                                        ;       Parent Loop BB3_76 Depth=3
                                        ; =>      This Inner Loop Header: Depth=4
	global_load_dword v15, v[24:25], off
	v_add_u32_e32 v2, 0x100, v2
	v_cmp_lt_i32_e32 vcc, s72, v2
	s_or_b64 s[18:19], vcc, s[18:19]
	s_waitcnt vmcnt(0)
	v_mul_f32_e32 v15, v22, v15
	global_store_dword v[24:25], v15, off
	v_add_co_u32_e32 v24, vcc, 0x400, v24
	v_addc_co_u32_e32 v25, vcc, 0, v25, vcc
	s_andn2_b64 exec, exec, s[18:19]
	s_cbranch_execnz .LBB3_118
.LBB3_119:                              ;   in Loop: Header=BB3_76 Depth=3
	s_or_b64 exec, exec, s[16:17]
	s_barrier
	s_and_saveexec_b64 s[18:19], s[0:1]
	s_cbranch_execz .LBB3_152
; %bb.120:                              ;   in Loop: Header=BB3_76 Depth=3
	global_load_dwordx2 v[22:23], v3, s[38:39]
	global_load_dword v2, v3, s[54:55]
	s_mov_b64 s[16:17], s[44:45]
	s_mov_b64 s[30:31], s[58:59]
	;; [unrolled: 1-line block ×3, first 2 shown]
	s_andn2_b64 vcc, exec, s[84:85]
	s_mov_b32 s26, s67
	s_waitcnt vmcnt(0)
	v_max3_f32 v2, |v22|, |v23|, |v2|
	s_cbranch_vccnz .LBB3_122
.LBB3_121:                              ;   Parent Loop BB3_17 Depth=1
                                        ;     Parent Loop BB3_28 Depth=2
                                        ;       Parent Loop BB3_76 Depth=3
                                        ; =>      This Inner Loop Header: Depth=4
	global_load_dword v15, v3, s[92:93]
	global_load_dword v22, v3, s[16:17]
	;; [unrolled: 1-line block ×3, first 2 shown]
	s_add_i32 s26, s26, -1
	s_add_u32 s92, s92, 4
	s_addc_u32 s93, s93, 0
	s_add_u32 s30, s30, 4
	s_addc_u32 s31, s31, 0
	;; [unrolled: 2-line block ×3, first 2 shown]
	s_cmp_lg_u32 s26, 0
	s_waitcnt vmcnt(2)
	v_max_f32_e64 v15, |v15|, |v15|
	s_waitcnt vmcnt(1)
	v_max_f32_e64 v22, |v22|, |v22|
	v_max_f32_e32 v15, v22, v15
	s_waitcnt vmcnt(0)
	v_max3_f32 v2, v2, |v23|, v15
	s_cbranch_scc1 .LBB3_121
.LBB3_122:                              ;   in Loop: Header=BB3_76 Depth=3
	s_mov_b32 s26, 1
	s_mov_b64 s[16:17], 0
	s_mov_b32 s92, s72
	s_branch .LBB3_124
.LBB3_123:                              ;   in Loop: Header=BB3_124 Depth=4
	s_add_u32 s34, s34, s16
	s_addc_u32 s35, s35, s17
	global_load_dword v15, v3, s[34:35]
	s_add_i32 s26, s26, 1
	s_add_u32 s16, s16, 4
	s_addc_u32 s17, s17, 0
	s_add_i32 s92, s92, -1
	s_cmp_lg_u32 s92, 0
	s_waitcnt vmcnt(0)
	v_fma_f32 v15, -v23, v15, v22
	global_store_dword v3, v15, s[30:31]
	s_cbranch_scc0 .LBB3_128
.LBB3_124:                              ;   Parent Loop BB3_17 Depth=1
                                        ;     Parent Loop BB3_28 Depth=2
                                        ;       Parent Loop BB3_76 Depth=3
                                        ; =>      This Inner Loop Header: Depth=4
	s_add_u32 s30, s60, s16
	s_addc_u32 s31, s61, s17
	global_load_dword v15, v3, s[30:31]
	s_waitcnt vmcnt(0)
	v_cmp_ne_u32_e32 vcc, 0, v15
	s_cbranch_vccz .LBB3_126
; %bb.125:                              ;   in Loop: Header=BB3_124 Depth=4
	s_add_u32 s34, s20, s16
	s_addc_u32 s35, s21, s17
	global_load_dwordx2 v[22:23], v3, s[34:35]
	s_lshl_b64 s[30:31], s[26:27], 2
	s_add_u32 s30, s20, s30
	s_addc_u32 s31, s21, s31
	s_waitcnt vmcnt(0)
	global_store_dword v3, v23, s[34:35]
	s_mov_b64 s[34:35], s[42:43]
	s_cbranch_execnz .LBB3_123
	s_branch .LBB3_127
.LBB3_126:                              ;   in Loop: Header=BB3_124 Depth=4
                                        ; implicit-def: $vgpr22
                                        ; implicit-def: $sgpr30_sgpr31
	s_mov_b64 s[34:35], s[42:43]
.LBB3_127:                              ;   in Loop: Header=BB3_124 Depth=4
	s_add_u32 s34, s20, s16
	s_addc_u32 s35, s21, s17
	s_add_u32 s30, s34, 4
	s_addc_u32 s31, s35, 0
	;; [unrolled: 2-line block ×3, first 2 shown]
	global_load_dword v22, v3, s[34:35] offset:4
	global_load_dword v23, v3, s[94:95]
	s_mov_b64 s[34:35], s[20:21]
	s_branch .LBB3_123
.LBB3_128:                              ;   in Loop: Header=BB3_76 Depth=3
	v_mul_f32_e32 v2, s52, v2
	v_mov_b32_e32 v15, s52
	v_cmp_eq_f32_e32 vcc, 0, v2
	v_cndmask_b32_e32 v2, v2, v15, vcc
	v_and_b32_e32 v15, 0x7fffffff, v2
	s_mov_b32 s26, s72
	s_branch .LBB3_131
.LBB3_129:                              ;   in Loop: Header=BB3_131 Depth=4
	v_mov_b32_e32 v26, v25
	v_mov_b32_e32 v22, v24
.LBB3_130:                              ;   in Loop: Header=BB3_131 Depth=4
	v_div_scale_f32 v23, s[16:17], v26, v26, v22
	v_rcp_f32_e32 v24, v23
	v_div_scale_f32 v25, vcc, v22, v26, v22
	s_add_i32 s16, s26, -1
	v_fma_f32 v27, -v23, v24, 1.0
	v_fmac_f32_e32 v24, v27, v24
	v_mul_f32_e32 v27, v25, v24
	v_fma_f32 v28, -v23, v27, v25
	v_fmac_f32_e32 v27, v28, v24
	v_fma_f32 v23, -v23, v27, v25
	v_div_fmas_f32 v23, v23, v24, v27
	v_div_fixup_f32 v22, v23, v26, v22
	s_cmp_gt_i32 s26, 0
	s_mov_b32 s26, s16
	global_store_dword v3, v22, s[92:93]
	s_cbranch_scc0 .LBB3_152
.LBB3_131:                              ;   Parent Loop BB3_17 Depth=1
                                        ;     Parent Loop BB3_28 Depth=2
                                        ;       Parent Loop BB3_76 Depth=3
                                        ; =>      This Loop Header: Depth=4
                                        ;           Child Loop BB3_138 Depth 5
	s_lshl_b64 s[16:17], s[26:27], 2
	s_add_u32 s92, s20, s16
	s_addc_u32 s93, s21, s17
	global_load_dword v22, v3, s[92:93]
	s_cmp_ge_i32 s26, s72
	s_cbranch_scc1 .LBB3_133
; %bb.132:                              ;   in Loop: Header=BB3_131 Depth=4
	s_add_u32 s30, s54, s16
	s_addc_u32 s31, s55, s17
	global_load_dword v23, v3, s[30:31]
	global_load_dword v24, v3, s[92:93] offset:4
	s_waitcnt vmcnt(0)
	v_fma_f32 v22, -v23, v24, v22
.LBB3_133:                              ;   in Loop: Header=BB3_131 Depth=4
	s_cmp_ge_i32 s26, s67
	s_cbranch_scc1 .LBB3_135
; %bb.134:                              ;   in Loop: Header=BB3_131 Depth=4
	s_add_u32 s30, s46, s16
	s_addc_u32 s31, s47, s17
	global_load_dword v23, v3, s[30:31]
	global_load_dword v24, v3, s[92:93] offset:8
	s_waitcnt vmcnt(0)
	v_fma_f32 v22, -v23, v24, v22
.LBB3_135:                              ;   in Loop: Header=BB3_131 Depth=4
	s_add_u32 s16, s38, s16
	s_addc_u32 s17, s39, s17
	global_load_dword v26, v3, s[16:17]
	s_waitcnt vmcnt(0)
	v_cmp_nlt_f32_e64 s[16:17], |v26|, 1.0
	s_and_b64 vcc, exec, s[16:17]
	s_cbranch_vccnz .LBB3_130
; %bb.136:                              ;   in Loop: Header=BB3_131 Depth=4
	v_cmp_nle_f32_e32 vcc, 0, v26
	v_and_b32_e32 v28, 0x7fffffff, v26
	v_cndmask_b32_e64 v27, |v2|, -v15, vcc
	v_mul_f32_e64 v24, |v22|, s53
	s_branch .LBB3_138
.LBB3_137:                              ;   in Loop: Header=BB3_138 Depth=5
	v_add_f32_e32 v25, v26, v27
	v_add_f32_e32 v27, v27, v27
	v_and_b32_e32 v28, 0x7fffffff, v25
	v_cmp_nlt_f32_e64 s[34:35], |v25|, 1.0
	s_mov_b64 s[16:17], 0
	s_mov_b64 s[30:31], 0
	v_mov_b32_e32 v23, v26
	s_andn2_b64 vcc, exec, s[34:35]
	v_mov_b32_e32 v26, v25
	s_cbranch_vccz .LBB3_144
.LBB3_138:                              ;   Parent Loop BB3_17 Depth=1
                                        ;     Parent Loop BB3_28 Depth=2
                                        ;       Parent Loop BB3_76 Depth=3
                                        ;         Parent Loop BB3_131 Depth=4
                                        ; =>        This Inner Loop Header: Depth=5
	v_cmp_ngt_f32_e32 vcc, s53, v28
	s_cbranch_vccz .LBB3_140
; %bb.139:                              ;   in Loop: Header=BB3_138 Depth=5
	v_mul_f32_e32 v23, v4, v28
	v_cmp_gt_f32_e64 s[94:95], |v22|, v23
	s_mov_b64 s[30:31], -1
	s_mov_b64 s[16:17], 0
	v_mov_b32_e32 v23, v26
	s_cbranch_execz .LBB3_141
	s_branch .LBB3_142
.LBB3_140:                              ;   in Loop: Header=BB3_138 Depth=5
	s_mov_b64 s[16:17], -1
	s_mov_b64 s[94:95], 0
                                        ; implicit-def: $sgpr30_sgpr31
	v_mov_b32_e32 v23, v26
.LBB3_141:                              ;   in Loop: Header=BB3_138 Depth=5
	v_cmp_eq_f32_e32 vcc, 0, v26
	v_cmp_gt_f32_e64 s[16:17], v24, v28
	s_or_b64 s[94:95], vcc, s[16:17]
	s_mov_b64 s[30:31], 0
	s_mov_b64 s[16:17], -1
	v_mov_b32_e32 v23, v26
.LBB3_142:                              ;   in Loop: Header=BB3_138 Depth=5
	s_andn2_b64 vcc, exec, s[94:95]
	s_cbranch_vccz .LBB3_137
; %bb.143:                              ;   in Loop: Header=BB3_131 Depth=4
                                        ; implicit-def: $vgpr27
                                        ; implicit-def: $vgpr25
                                        ; implicit-def: $vgpr28
	v_mov_b32_e32 v26, v25
.LBB3_144:                              ;   in Loop: Header=BB3_131 Depth=4
	s_mov_b64 s[34:35], -1
	s_and_b64 vcc, exec, s[30:31]
	s_cbranch_vccnz .LBB3_147
; %bb.145:                              ;   in Loop: Header=BB3_131 Depth=4
	s_xor_b64 s[16:17], s[16:17], -1
	s_and_b64 vcc, exec, s[16:17]
	s_cbranch_vccz .LBB3_148
; %bb.146:                              ;   in Loop: Header=BB3_131 Depth=4
	v_mov_b32_e32 v24, v22
	s_cbranch_execz .LBB3_149
	s_branch .LBB3_150
.LBB3_147:                              ;   in Loop: Header=BB3_131 Depth=4
                                        ; implicit-def: $vgpr25
	s_andn2_b64 vcc, exec, s[34:35]
	s_cbranch_vccnz .LBB3_129
	s_branch .LBB3_151
.LBB3_148:                              ;   in Loop: Header=BB3_131 Depth=4
                                        ; implicit-def: $vgpr25
	v_mov_b32_e32 v24, v22
.LBB3_149:                              ;   in Loop: Header=BB3_131 Depth=4
	v_pk_mul_f32 v[24:25], v[4:5], v[22:23]
.LBB3_150:                              ;   in Loop: Header=BB3_131 Depth=4
	s_cbranch_execnz .LBB3_129
.LBB3_151:                              ;   in Loop: Header=BB3_131 Depth=4
	v_mov_b32_e32 v25, v23
	v_mov_b32_e32 v24, v22
	s_branch .LBB3_129
.LBB3_152:                              ;   in Loop: Header=BB3_76 Depth=3
	s_or_b64 exec, exec, s[18:19]
	s_andn2_b64 vcc, exec, s[88:89]
	s_barrier
	s_cbranch_vccnz .LBB3_162
; %bb.153:                              ;   in Loop: Header=BB3_76 Depth=3
	s_and_b64 s[16:17], s[90:91], exec
	s_cselect_b32 s26, s86, s29
	s_cmp_eq_u32 s26, s86
	s_mov_b32 s29, s86
	s_cbranch_scc1 .LBB3_162
; %bb.154:                              ;   in Loop: Header=BB3_76 Depth=3
	s_cmp_lt_i32 s26, s86
	s_cselect_b64 s[16:17], -1, 0
	s_and_b64 s[18:19], s[0:1], s[16:17]
	s_and_saveexec_b64 s[16:17], s[18:19]
	s_cbranch_execz .LBB3_161
; %bb.155:                              ;   in Loop: Header=BB3_76 Depth=3
	s_mul_i32 s18, s37, s26
	s_add_i32 s29, s68, s18
	s_mov_b32 s34, s26
.LBB3_156:                              ;   Parent Loop BB3_17 Depth=1
                                        ;     Parent Loop BB3_28 Depth=2
                                        ;       Parent Loop BB3_76 Depth=3
                                        ; =>      This Loop Header: Depth=4
                                        ;           Child Loop BB3_157 Depth 5
                                        ;           Child Loop BB3_159 Depth 5
	v_mov_b32_e32 v2, 0
	s_mov_b64 s[18:19], s[20:21]
	s_mov_b32 s30, s29
	s_mov_b32 s35, s71
.LBB3_157:                              ;   Parent Loop BB3_17 Depth=1
                                        ;     Parent Loop BB3_28 Depth=2
                                        ;       Parent Loop BB3_76 Depth=3
                                        ;         Parent Loop BB3_156 Depth=4
                                        ; =>        This Inner Loop Header: Depth=5
	s_ashr_i32 s31, s30, 31
	s_lshl_b64 s[92:93], s[30:31], 3
	s_add_u32 s92, s36, s92
	s_addc_u32 s93, s49, s93
	global_load_dword v15, v3, s[18:19]
	global_load_dword v22, v3, s[92:93]
	s_add_i32 s35, s35, -1
	s_add_i32 s30, s30, 1
	s_add_u32 s18, s18, 4
	s_addc_u32 s19, s19, 0
	s_cmp_lg_u32 s35, 0
	s_waitcnt vmcnt(0)
	v_fmac_f32_e32 v2, v15, v22
	s_cbranch_scc1 .LBB3_157
; %bb.158:                              ;   in Loop: Header=BB3_156 Depth=4
	s_mov_b32 s30, 0
	s_mov_b64 s[18:19], s[20:21]
.LBB3_159:                              ;   Parent Loop BB3_17 Depth=1
                                        ;     Parent Loop BB3_28 Depth=2
                                        ;       Parent Loop BB3_76 Depth=3
                                        ;         Parent Loop BB3_156 Depth=4
                                        ; =>        This Inner Loop Header: Depth=5
	s_add_i32 s92, s29, s30
	s_ashr_i32 s93, s92, 31
	s_lshl_b64 s[92:93], s[92:93], 3
	s_add_u32 s92, s36, s92
	s_addc_u32 s93, s49, s93
	global_load_dword v15, v3, s[18:19]
	global_load_dword v22, v3, s[92:93]
	s_add_i32 s30, s30, 1
	s_waitcnt vmcnt(0)
	v_fma_f32 v15, -v2, v22, v15
	global_store_dword v3, v15, s[18:19]
	s_add_u32 s18, s18, 4
	s_addc_u32 s19, s19, 0
	s_cmp_lg_u32 s71, s30
	s_cbranch_scc1 .LBB3_159
; %bb.160:                              ;   in Loop: Header=BB3_156 Depth=4
	s_add_i32 s34, s34, 1
	s_add_i32 s29, s29, s37
	s_cmp_lt_i32 s34, s86
	s_cbranch_scc1 .LBB3_156
.LBB3_161:                              ;   in Loop: Header=BB3_76 Depth=3
	s_or_b64 exec, exec, s[16:17]
	s_mov_b32 s29, s26
	s_barrier
.LBB3_162:                              ;   in Loop: Header=BB3_76 Depth=3
	v_bfrev_b32_e32 v15, -2
	v_mov_b32_e32 v2, 0
	s_and_saveexec_b64 s[30:31], s[8:9]
	s_cbranch_execz .LBB3_166
; %bb.163:                              ;   in Loop: Header=BB3_76 Depth=3
	s_mov_b64 s[92:93], 0
	v_bfrev_b32_e32 v15, -2
	v_mov_b32_e32 v2, 0
	v_pk_mov_b32 v[22:23], v[8:9], v[8:9] op_sel:[0,1]
	v_mov_b32_e32 v24, v0
.LBB3_164:                              ;   Parent Loop BB3_17 Depth=1
                                        ;     Parent Loop BB3_28 Depth=2
                                        ;       Parent Loop BB3_76 Depth=3
                                        ; =>      This Inner Loop Header: Depth=4
	global_load_dword v25, v[22:23], off
	v_add_co_u32_e32 v22, vcc, 0x400, v22
	v_cmp_eq_u32_e64 s[16:17], s23, v15
	v_add_u32_e32 v26, 1, v24
	v_add_u32_e32 v24, 0x100, v24
	v_addc_co_u32_e32 v23, vcc, 0, v23, vcc
	v_cmp_lt_i32_e64 s[18:19], s72, v24
	s_waitcnt vmcnt(0)
	v_cmp_lt_f32_e64 s[34:35], v2, |v25|
	s_or_b64 vcc, s[34:35], s[16:17]
	v_cndmask_b32_e64 v2, v2, |v25|, vcc
	s_or_b64 s[92:93], s[18:19], s[92:93]
	v_cndmask_b32_e32 v15, v15, v26, vcc
	s_andn2_b64 exec, exec, s[92:93]
	s_cbranch_execnz .LBB3_164
; %bb.165:                              ;   in Loop: Header=BB3_76 Depth=3
	s_or_b64 exec, exec, s[92:93]
.LBB3_166:                              ;   in Loop: Header=BB3_76 Depth=3
	s_or_b64 exec, exec, s[30:31]
	ds_write2st64_b32 v31, v2, v15 offset1:8
	s_waitcnt lgkmcnt(0)
	s_barrier
	s_and_saveexec_b64 s[18:19], s[2:3]
	s_cbranch_execz .LBB3_172
; %bb.167:                              ;   in Loop: Header=BB3_76 Depth=3
	ds_read_b32 v22, v31 offset:512
	ds_read_b32 v23, v32 offset:512
	s_waitcnt lgkmcnt(1)
	v_cmp_lt_f32_e64 s[30:31], v2, v22
	v_cmp_nlt_f32_e32 vcc, v2, v22
	s_and_saveexec_b64 s[34:35], vcc
	s_cbranch_execz .LBB3_169
; %bb.168:                              ;   in Loop: Header=BB3_76 Depth=3
	v_cmp_eq_f32_e32 vcc, v2, v22
	s_waitcnt lgkmcnt(0)
	v_cmp_gt_i32_e64 s[16:17], v15, v23
	s_and_b64 s[16:17], vcc, s[16:17]
	s_andn2_b64 s[30:31], s[30:31], exec
	s_and_b64 s[16:17], s[16:17], exec
	s_or_b64 s[30:31], s[30:31], s[16:17]
.LBB3_169:                              ;   in Loop: Header=BB3_76 Depth=3
	s_or_b64 exec, exec, s[34:35]
	s_and_saveexec_b64 s[16:17], s[30:31]
	s_cbranch_execz .LBB3_171
; %bb.170:                              ;   in Loop: Header=BB3_76 Depth=3
	s_waitcnt lgkmcnt(0)
	v_mov_b32_e32 v15, v23
	v_mov_b32_e32 v2, v22
	ds_write2st64_b32 v31, v22, v23 offset1:8
.LBB3_171:                              ;   in Loop: Header=BB3_76 Depth=3
	s_or_b64 exec, exec, s[16:17]
.LBB3_172:                              ;   in Loop: Header=BB3_76 Depth=3
	s_or_b64 exec, exec, s[18:19]
	s_waitcnt lgkmcnt(0)
	s_barrier
	s_and_saveexec_b64 s[92:93], s[4:5]
	s_cbranch_execz .LBB3_199
; %bb.173:                              ;   in Loop: Header=BB3_76 Depth=3
	ds_read_b32 v22, v31 offset:256
	ds_read_b32 v23, v32 offset:256
	s_waitcnt lgkmcnt(1)
	v_cmp_lt_f32_e64 s[18:19], v2, v22
	v_cmp_nlt_f32_e32 vcc, v2, v22
	s_and_saveexec_b64 s[30:31], vcc
	s_cbranch_execz .LBB3_175
; %bb.174:                              ;   in Loop: Header=BB3_76 Depth=3
	v_cmp_eq_f32_e32 vcc, v2, v22
	s_waitcnt lgkmcnt(0)
	v_cmp_gt_i32_e64 s[16:17], v15, v23
	s_and_b64 s[16:17], vcc, s[16:17]
	s_andn2_b64 s[18:19], s[18:19], exec
	s_and_b64 s[16:17], s[16:17], exec
	s_or_b64 s[18:19], s[18:19], s[16:17]
.LBB3_175:                              ;   in Loop: Header=BB3_76 Depth=3
	s_or_b64 exec, exec, s[30:31]
	s_and_saveexec_b64 s[16:17], s[18:19]
	s_cbranch_execz .LBB3_177
; %bb.176:                              ;   in Loop: Header=BB3_76 Depth=3
	v_mov_b32_e32 v2, v22
	s_waitcnt lgkmcnt(0)
	v_mov_b32_e32 v15, v23
	ds_write2st64_b32 v31, v22, v23 offset1:8
.LBB3_177:                              ;   in Loop: Header=BB3_76 Depth=3
	s_or_b64 exec, exec, s[16:17]
	ds_read_b32 v22, v31 offset:128
	s_waitcnt lgkmcnt(1)
	ds_read_b32 v23, v32 offset:128
	s_waitcnt lgkmcnt(1)
	v_cmp_lt_f32_e64 s[18:19], v2, v22
	v_cmp_nlt_f32_e32 vcc, v2, v22
	s_and_saveexec_b64 s[30:31], vcc
	s_cbranch_execz .LBB3_179
; %bb.178:                              ;   in Loop: Header=BB3_76 Depth=3
	v_cmp_eq_f32_e32 vcc, v2, v22
	s_waitcnt lgkmcnt(0)
	v_cmp_gt_i32_e64 s[16:17], v15, v23
	s_and_b64 s[16:17], vcc, s[16:17]
	s_andn2_b64 s[18:19], s[18:19], exec
	s_and_b64 s[16:17], s[16:17], exec
	s_or_b64 s[18:19], s[18:19], s[16:17]
.LBB3_179:                              ;   in Loop: Header=BB3_76 Depth=3
	s_or_b64 exec, exec, s[30:31]
	s_and_saveexec_b64 s[16:17], s[18:19]
	s_cbranch_execz .LBB3_181
; %bb.180:                              ;   in Loop: Header=BB3_76 Depth=3
	v_mov_b32_e32 v2, v22
	s_waitcnt lgkmcnt(0)
	v_mov_b32_e32 v15, v23
	ds_write2st64_b32 v31, v22, v23 offset1:8
.LBB3_181:                              ;   in Loop: Header=BB3_76 Depth=3
	s_or_b64 exec, exec, s[16:17]
	ds_read_b32 v22, v31 offset:64
	s_waitcnt lgkmcnt(1)
	;; [unrolled: 27-line block ×6, first 2 shown]
	ds_read_b32 v23, v32 offset:4
	s_waitcnt lgkmcnt(1)
	v_cmp_eq_f32_e64 s[16:17], v2, v22
	s_waitcnt lgkmcnt(0)
	v_cmp_gt_i32_e64 s[18:19], v15, v23
	v_cmp_lt_f32_e32 vcc, v2, v22
	s_and_b64 s[16:17], s[16:17], s[18:19]
	s_or_b64 s[16:17], vcc, s[16:17]
	s_and_b64 exec, exec, s[16:17]
	s_cbranch_execz .LBB3_199
; %bb.198:                              ;   in Loop: Header=BB3_76 Depth=3
	ds_write2st64_b32 v31, v22, v23 offset1:8
.LBB3_199:                              ;   in Loop: Header=BB3_76 Depth=3
	s_or_b64 exec, exec, s[92:93]
	s_waitcnt lgkmcnt(0)
	s_barrier
	ds_read_b32 v2, v37
	s_waitcnt lgkmcnt(0)
	v_cmp_ge_f32_e32 vcc, v2, v42
	s_cmp_lg_u64 vcc, 0
	s_addc_u32 s87, s87, 0
	s_add_i32 s18, s51, 1
	s_cmp_lt_u32 s51, 4
	s_cselect_b64 s[30:31], -1, 0
	s_cmp_lt_u32 s87, 2
	s_cselect_b64 s[16:17], -1, 0
	s_and_b64 s[30:31], s[30:31], s[16:17]
	s_and_b64 vcc, exec, s[30:31]
	s_cbranch_vccz .LBB3_201
; %bb.200:                              ;   in Loop: Header=BB3_76 Depth=3
	s_mov_b32 s51, s18
	v_bfrev_b32_e32 v15, -2
	v_mov_b32_e32 v2, 0
	s_and_saveexec_b64 s[30:31], s[8:9]
	s_cbranch_execnz .LBB3_73
	s_branch .LBB3_76
.LBB3_201:                              ;   in Loop: Header=BB3_28 Depth=2
	v_readlane_b32 s18, v52, 14
	v_readlane_b32 s19, v52, 15
	s_and_b64 s[18:19], s[18:19], s[16:17]
	s_and_saveexec_b64 s[16:17], s[18:19]
	s_cbranch_execz .LBB3_203
; %bb.202:                              ;   in Loop: Header=BB3_28 Depth=2
	ds_read_b32 v22, v3
	v_readlane_b32 s30, v52, 2
	v_readlane_b32 s31, v52, 3
	s_add_i32 s18, s86, 1
	v_mov_b32_e32 v2, s31
	s_waitcnt lgkmcnt(0)
	v_ashrrev_i32_e32 v23, 31, v22
	v_lshlrev_b64 v[24:25], 2, v[22:23]
	v_add_co_u32_e32 v24, vcc, s30, v24
	v_addc_co_u32_e32 v25, vcc, v2, v25, vcc
	v_mov_b32_e32 v2, s18
	flat_store_dword v[24:25], v2
	v_add_u32_e32 v2, 1, v22
	ds_write_b32 v3, v2
.LBB3_203:                              ;   in Loop: Header=BB3_28 Depth=2
	s_or_b64 exec, exec, s[16:17]
	v_bfrev_b32_e32 v15, -2
	v_mov_b32_e32 v2, 0
	s_and_saveexec_b64 s[30:31], s[8:9]
	s_cbranch_execz .LBB3_207
; %bb.204:                              ;   in Loop: Header=BB3_28 Depth=2
	s_mov_b64 s[88:89], 0
	v_bfrev_b32_e32 v15, -2
	v_mov_b32_e32 v2, 0
	v_pk_mov_b32 v[22:23], v[8:9], v[8:9] op_sel:[0,1]
	v_mov_b32_e32 v24, v0
.LBB3_205:                              ;   Parent Loop BB3_17 Depth=1
                                        ;     Parent Loop BB3_28 Depth=2
                                        ; =>    This Inner Loop Header: Depth=3
	global_load_dword v25, v[22:23], off
	v_add_co_u32_e32 v22, vcc, 0x400, v22
	v_cmp_eq_u32_e64 s[16:17], s23, v15
	v_add_u32_e32 v26, 1, v24
	v_add_u32_e32 v24, 0x100, v24
	v_addc_co_u32_e32 v23, vcc, 0, v23, vcc
	v_cmp_lt_i32_e64 s[18:19], s72, v24
	s_waitcnt vmcnt(0)
	v_cmp_lt_f32_e64 s[34:35], v2, |v25|
	s_or_b64 vcc, s[34:35], s[16:17]
	v_cndmask_b32_e64 v2, v2, |v25|, vcc
	s_or_b64 s[88:89], s[18:19], s[88:89]
	v_cndmask_b32_e32 v15, v15, v26, vcc
	s_andn2_b64 exec, exec, s[88:89]
	s_cbranch_execnz .LBB3_205
; %bb.206:                              ;   in Loop: Header=BB3_28 Depth=2
	s_or_b64 exec, exec, s[88:89]
.LBB3_207:                              ;   in Loop: Header=BB3_28 Depth=2
	s_or_b64 exec, exec, s[30:31]
	ds_write2st64_b32 v31, v2, v15 offset1:8
	s_waitcnt lgkmcnt(0)
	s_barrier
	s_and_saveexec_b64 s[18:19], s[2:3]
	s_cbranch_execz .LBB3_213
; %bb.208:                              ;   in Loop: Header=BB3_28 Depth=2
	ds_read_b32 v22, v31 offset:512
	ds_read_b32 v23, v32 offset:512
	s_waitcnt lgkmcnt(0)
	v_cmp_lt_f32_e64 s[30:31], v2, v22
	v_cmp_nlt_f32_e32 vcc, v2, v22
	s_and_saveexec_b64 s[34:35], vcc
; %bb.209:                              ;   in Loop: Header=BB3_28 Depth=2
	v_cmp_eq_f32_e32 vcc, v2, v22
	v_cmp_gt_i32_e64 s[16:17], v15, v23
	s_and_b64 s[16:17], vcc, s[16:17]
	s_andn2_b64 s[30:31], s[30:31], exec
	s_and_b64 s[16:17], s[16:17], exec
	s_or_b64 s[30:31], s[30:31], s[16:17]
; %bb.210:                              ;   in Loop: Header=BB3_28 Depth=2
	s_or_b64 exec, exec, s[34:35]
	s_and_saveexec_b64 s[16:17], s[30:31]
	s_cbranch_execz .LBB3_212
; %bb.211:                              ;   in Loop: Header=BB3_28 Depth=2
	v_mov_b32_e32 v15, v23
	v_mov_b32_e32 v2, v22
	ds_write2st64_b32 v31, v22, v23 offset1:8
.LBB3_212:                              ;   in Loop: Header=BB3_28 Depth=2
	s_or_b64 exec, exec, s[16:17]
.LBB3_213:                              ;   in Loop: Header=BB3_28 Depth=2
	s_or_b64 exec, exec, s[18:19]
	s_waitcnt lgkmcnt(0)
	s_barrier
	s_and_saveexec_b64 s[88:89], s[4:5]
	s_cbranch_execz .LBB3_240
; %bb.214:                              ;   in Loop: Header=BB3_28 Depth=2
	ds_read_b32 v22, v31 offset:256
	ds_read_b32 v23, v32 offset:256
	s_waitcnt lgkmcnt(0)
	v_cmp_lt_f32_e64 s[18:19], v2, v22
	v_cmp_nlt_f32_e32 vcc, v2, v22
	s_and_saveexec_b64 s[30:31], vcc
; %bb.215:                              ;   in Loop: Header=BB3_28 Depth=2
	v_cmp_eq_f32_e32 vcc, v2, v22
	v_cmp_gt_i32_e64 s[16:17], v15, v23
	s_and_b64 s[16:17], vcc, s[16:17]
	s_andn2_b64 s[18:19], s[18:19], exec
	s_and_b64 s[16:17], s[16:17], exec
	s_or_b64 s[18:19], s[18:19], s[16:17]
; %bb.216:                              ;   in Loop: Header=BB3_28 Depth=2
	s_or_b64 exec, exec, s[30:31]
	s_and_saveexec_b64 s[16:17], s[18:19]
	s_cbranch_execz .LBB3_218
; %bb.217:                              ;   in Loop: Header=BB3_28 Depth=2
	v_mov_b32_e32 v2, v22
	v_mov_b32_e32 v15, v23
	ds_write2st64_b32 v31, v22, v23 offset1:8
.LBB3_218:                              ;   in Loop: Header=BB3_28 Depth=2
	s_or_b64 exec, exec, s[16:17]
	ds_read_b32 v22, v31 offset:128
	ds_read_b32 v23, v32 offset:128
	s_waitcnt lgkmcnt(0)
	v_cmp_lt_f32_e64 s[18:19], v2, v22
	v_cmp_nlt_f32_e32 vcc, v2, v22
	s_and_saveexec_b64 s[30:31], vcc
; %bb.219:                              ;   in Loop: Header=BB3_28 Depth=2
	v_cmp_eq_f32_e32 vcc, v2, v22
	v_cmp_gt_i32_e64 s[16:17], v15, v23
	s_and_b64 s[16:17], vcc, s[16:17]
	s_andn2_b64 s[18:19], s[18:19], exec
	s_and_b64 s[16:17], s[16:17], exec
	s_or_b64 s[18:19], s[18:19], s[16:17]
; %bb.220:                              ;   in Loop: Header=BB3_28 Depth=2
	s_or_b64 exec, exec, s[30:31]
	s_and_saveexec_b64 s[16:17], s[18:19]
	s_cbranch_execz .LBB3_222
; %bb.221:                              ;   in Loop: Header=BB3_28 Depth=2
	v_mov_b32_e32 v2, v22
	v_mov_b32_e32 v15, v23
	ds_write2st64_b32 v31, v22, v23 offset1:8
.LBB3_222:                              ;   in Loop: Header=BB3_28 Depth=2
	s_or_b64 exec, exec, s[16:17]
	;; [unrolled: 23-line block ×6, first 2 shown]
	ds_read_b32 v22, v31 offset:4
	ds_read_b32 v23, v32 offset:4
	s_waitcnt lgkmcnt(0)
	v_cmp_eq_f32_e64 s[16:17], v2, v22
	v_cmp_gt_i32_e64 s[18:19], v15, v23
	v_cmp_lt_f32_e32 vcc, v2, v22
	s_and_b64 s[16:17], s[16:17], s[18:19]
	s_or_b64 s[16:17], vcc, s[16:17]
	s_and_b64 exec, exec, s[16:17]
	s_cbranch_execz .LBB3_240
; %bb.239:                              ;   in Loop: Header=BB3_28 Depth=2
	ds_write2st64_b32 v31, v22, v23 offset1:8
.LBB3_240:                              ;   in Loop: Header=BB3_28 Depth=2
	s_or_b64 exec, exec, s[88:89]
	v_mov_b32_e32 v2, 0
	s_and_saveexec_b64 s[18:19], s[8:9]
	s_cbranch_execz .LBB3_244
; %bb.241:                              ;   in Loop: Header=BB3_28 Depth=2
	s_mov_b64 s[30:31], 0
	v_mov_b32_e32 v2, 0
	v_pk_mov_b32 v[22:23], v[8:9], v[8:9] op_sel:[0,1]
	v_mov_b32_e32 v15, v0
.LBB3_242:                              ;   Parent Loop BB3_17 Depth=1
                                        ;     Parent Loop BB3_28 Depth=2
                                        ; =>    This Inner Loop Header: Depth=3
	global_load_dword v24, v[22:23], off
	v_add_u32_e32 v15, 0x100, v15
	v_add_co_u32_e32 v22, vcc, 0x400, v22
	v_cmp_lt_i32_e64 s[16:17], s72, v15
	v_addc_co_u32_e32 v23, vcc, 0, v23, vcc
	s_or_b64 s[30:31], s[16:17], s[30:31]
	s_waitcnt vmcnt(0)
	v_fmac_f32_e32 v2, v24, v24
	s_andn2_b64 exec, exec, s[30:31]
	s_cbranch_execnz .LBB3_242
; %bb.243:                              ;   in Loop: Header=BB3_28 Depth=2
	s_or_b64 exec, exec, s[30:31]
.LBB3_244:                              ;   in Loop: Header=BB3_28 Depth=2
	s_or_b64 exec, exec, s[18:19]
	ds_write_b32 v31, v2 offset:1024
	s_waitcnt lgkmcnt(0)
	s_barrier
	s_and_saveexec_b64 s[16:17], s[2:3]
	s_cbranch_execz .LBB3_246
; %bb.245:                              ;   in Loop: Header=BB3_28 Depth=2
	ds_read_b32 v15, v31 offset:1536
	s_waitcnt lgkmcnt(0)
	v_add_f32_e32 v2, v2, v15
.LBB3_246:                              ;   in Loop: Header=BB3_28 Depth=2
	s_or_b64 exec, exec, s[16:17]
	s_barrier
	s_and_saveexec_b64 s[16:17], s[2:3]
	s_cbranch_execz .LBB3_248
; %bb.247:                              ;   in Loop: Header=BB3_28 Depth=2
	ds_write_b32 v31, v2 offset:1024
.LBB3_248:                              ;   in Loop: Header=BB3_28 Depth=2
	s_or_b64 exec, exec, s[16:17]
	s_waitcnt lgkmcnt(0)
	s_barrier
	s_and_saveexec_b64 s[16:17], s[4:5]
	s_cbranch_execz .LBB3_250
; %bb.249:                              ;   in Loop: Header=BB3_28 Depth=2
	ds_read2st64_b32 v[22:23], v31 offset0:4 offset1:5
	v_add_u32_e32 v2, 0x400, v31
	s_waitcnt lgkmcnt(0)
	v_add_f32_e32 v15, v22, v23
	ds_write_b32 v31, v15 offset:1024
	s_waitcnt vmcnt(0) lgkmcnt(0)
	buffer_wbinvl1_vol
	ds_read2_b32 v[22:23], v2 offset1:32
	s_waitcnt lgkmcnt(0)
	v_add_f32_e32 v15, v22, v23
	ds_write_b32 v31, v15 offset:1024
	s_waitcnt lgkmcnt(0)
	buffer_wbinvl1_vol
	ds_read2_b32 v[22:23], v2 offset1:16
	s_waitcnt lgkmcnt(0)
	v_add_f32_e32 v15, v22, v23
	ds_write_b32 v31, v15 offset:1024
	s_waitcnt lgkmcnt(0)
	;; [unrolled: 6-line block ×6, first 2 shown]
	buffer_wbinvl1_vol
.LBB3_250:                              ;   in Loop: Header=BB3_28 Depth=2
	s_or_b64 exec, exec, s[16:17]
	s_and_saveexec_b64 s[18:19], s[0:1]
	s_cbranch_execz .LBB3_252
; %bb.251:                              ;   in Loop: Header=BB3_28 Depth=2
	ds_read_b32 v2, v37 offset:1024
	s_mov_b32 s16, 0xf800000
	s_waitcnt lgkmcnt(0)
	v_mul_f32_e32 v15, 0x4f800000, v2
	v_cmp_gt_f32_e32 vcc, s16, v2
	v_cndmask_b32_e32 v2, v2, v15, vcc
	v_sqrt_f32_e32 v15, v2
	v_add_u32_e32 v22, -1, v15
	v_add_u32_e32 v23, 1, v15
	v_fma_f32 v24, -v22, v15, v2
	v_fma_f32 v25, -v23, v15, v2
	v_cmp_ge_f32_e64 s[16:17], 0, v24
	v_cndmask_b32_e64 v15, v15, v22, s[16:17]
	v_cmp_lt_f32_e64 s[16:17], 0, v25
	v_cndmask_b32_e64 v15, v15, v23, s[16:17]
	v_mul_f32_e32 v22, 0x37800000, v15
	v_cndmask_b32_e32 v15, v15, v22, vcc
	v_cmp_class_f32_e32 vcc, v2, v34
	v_cndmask_b32_e32 v2, v15, v2, vcc
	ds_write_b32 v37, v2 offset:1024
.LBB3_252:                              ;   in Loop: Header=BB3_28 Depth=2
	s_or_b64 exec, exec, s[18:19]
	s_waitcnt lgkmcnt(0)
	s_barrier
	ds_read2st64_b32 v[22:23], v37 offset0:4 offset1:8
	v_readlane_b32 s16, v52, 22
	v_mov_b32_e32 v2, s16
	v_readlane_b32 s16, v52, 21
	s_waitcnt lgkmcnt(0)
	v_ashrrev_i32_e32 v25, 31, v23
	v_mov_b32_e32 v24, v23
	v_lshlrev_b64 v[24:25], 2, v[24:25]
	v_add_co_u32_e32 v24, vcc, s16, v24
	v_addc_co_u32_e32 v25, vcc, v2, v25, vcc
	global_load_dword v2, v[24:25], off
	s_barrier
	s_and_saveexec_b64 s[16:17], s[8:9]
	s_cbranch_execz .LBB3_262
; %bb.253:                              ;   in Loop: Header=BB3_28 Depth=2
	s_waitcnt vmcnt(0)
	v_cmp_nle_f32_e32 vcc, 0, v2
	v_cndmask_b32_e64 v2, 1.0, -1.0, vcc
	v_div_scale_f32 v15, s[18:19], v22, v22, v2
	v_rcp_f32_e32 v23, v15
	v_div_scale_f32 v24, vcc, v2, v22, v2
	s_mov_b64 s[30:31], -1
	v_fma_f32 v25, -v15, v23, 1.0
	v_fmac_f32_e32 v23, v25, v23
	v_mul_f32_e32 v25, v24, v23
	v_fma_f32 v26, -v15, v25, v24
	v_fmac_f32_e32 v25, v26, v23
	v_fma_f32 v15, -v15, v25, v24
	v_div_fmas_f32 v15, v15, v23, v25
	v_div_fixup_f32 v22, v15, v22, v2
	v_mov_b32_e32 v2, v0
	v_pk_mov_b32 v[24:25], v[6:7], v[6:7] op_sel:[0,1]
	s_and_saveexec_b64 s[18:19], s[12:13]
	s_cbranch_execz .LBB3_259
; %bb.254:                              ;   in Loop: Header=BB3_28 Depth=2
	v_mov_b32_e32 v23, v22
	s_mov_b64 s[30:31], 0
	v_mov_b32_e32 v15, v44
	v_pk_mov_b32 v[24:25], v[0:1], v[0:1] op_sel:[0,1]
.LBB3_255:                              ;   Parent Loop BB3_17 Depth=1
                                        ;     Parent Loop BB3_28 Depth=2
                                        ; =>    This Inner Loop Header: Depth=3
	v_mov_b32_e32 v2, v24
	v_lshlrev_b64 v[26:27], 2, v[2:3]
	v_mov_b32_e32 v45, s21
	v_mov_b32_e32 v2, v25
	v_add_co_u32_e32 v26, vcc, s20, v26
	v_lshlrev_b64 v[28:29], 2, v[2:3]
	v_addc_co_u32_e32 v27, vcc, v45, v27, vcc
	v_add_co_u32_e32 v28, vcc, s20, v28
	v_addc_co_u32_e32 v29, vcc, v45, v29, vcc
	global_load_dword v46, v[26:27], off
	global_load_dword v47, v[28:29], off
	v_add_u32_e32 v15, -2, v15
	v_cmp_eq_u32_e32 vcc, 0, v15
	v_add_u32_e32 v24, 0x200, v24
	v_add_u32_e32 v25, 0x200, v25
	s_or_b64 s[30:31], vcc, s[30:31]
	s_waitcnt vmcnt(0)
	v_pk_mul_f32 v[46:47], v[22:23], v[46:47]
	global_store_dword v[26:27], v46, off
	global_store_dword v[28:29], v47, off
	s_andn2_b64 exec, exec, s[30:31]
	s_cbranch_execnz .LBB3_255
; %bb.256:                              ;   in Loop: Header=BB3_28 Depth=2
	s_or_b64 exec, exec, s[30:31]
	s_mov_b64 s[30:31], 0
                                        ; implicit-def: $vgpr24_vgpr25
	s_and_saveexec_b64 s[34:35], s[14:15]
; %bb.257:                              ;   in Loop: Header=BB3_28 Depth=2
	v_mov_b32_e32 v15, v3
	s_mov_b64 s[30:31], exec
	v_lshlrev_b64 v[24:25], 2, v[14:15]
; %bb.258:                              ;   in Loop: Header=BB3_28 Depth=2
	s_or_b64 exec, exec, s[34:35]
	s_orn2_b64 s[30:31], s[30:31], exec
	v_mov_b32_e32 v2, v14
.LBB3_259:                              ;   in Loop: Header=BB3_28 Depth=2
	s_or_b64 exec, exec, s[18:19]
	s_and_b64 exec, exec, s[30:31]
	s_cbranch_execz .LBB3_262
; %bb.260:                              ;   in Loop: Header=BB3_28 Depth=2
	v_mov_b32_e32 v15, s21
	v_add_co_u32_e32 v24, vcc, s20, v24
	v_addc_co_u32_e32 v25, vcc, v15, v25, vcc
	s_mov_b64 s[18:19], 0
.LBB3_261:                              ;   Parent Loop BB3_17 Depth=1
                                        ;     Parent Loop BB3_28 Depth=2
                                        ; =>    This Inner Loop Header: Depth=3
	global_load_dword v15, v[24:25], off
	v_add_u32_e32 v2, 0x100, v2
	v_cmp_lt_i32_e32 vcc, s72, v2
	s_or_b64 s[18:19], vcc, s[18:19]
	s_waitcnt vmcnt(0)
	v_mul_f32_e32 v15, v22, v15
	global_store_dword v[24:25], v15, off
	v_add_co_u32_e32 v24, vcc, 0x400, v24
	v_addc_co_u32_e32 v25, vcc, 0, v25, vcc
	s_andn2_b64 exec, exec, s[18:19]
	s_cbranch_execnz .LBB3_261
.LBB3_262:                              ;   in Loop: Header=BB3_28 Depth=2
	s_or_b64 exec, exec, s[16:17]
	s_barrier
.LBB3_263:                              ;   in Loop: Header=BB3_28 Depth=2
	s_and_saveexec_b64 s[18:19], s[6:7]
	s_cbranch_execz .LBB3_27
; %bb.264:                              ;   in Loop: Header=BB3_28 Depth=2
	s_mov_b64 s[30:31], 0
	v_pk_mov_b32 v[22:23], v[20:21], v[20:21] op_sel:[0,1]
	v_mov_b32_e32 v15, v0
	s_branch .LBB3_266
.LBB3_265:                              ;   in Loop: Header=BB3_266 Depth=3
	s_or_b64 exec, exec, s[16:17]
	v_add_u32_e32 v24, s69, v15
	v_ashrrev_i32_e32 v25, 31, v24
	v_lshlrev_b64 v[24:25], 3, v[24:25]
	v_mov_b32_e32 v26, s49
	v_add_co_u32_e32 v24, vcc, s36, v24
	v_addc_co_u32_e32 v25, vcc, v26, v25, vcc
	v_add_u32_e32 v15, 0x100, v15
	v_add_co_u32_e32 v22, vcc, 0x400, v22
	v_cmp_le_i32_e64 s[16:17], s28, v15
	s_or_b64 s[30:31], s[16:17], s[30:31]
	v_addc_co_u32_e32 v23, vcc, 0, v23, vcc
	s_waitcnt vmcnt(0)
	global_store_dwordx2 v[24:25], v[2:3], off
	s_andn2_b64 exec, exec, s[30:31]
	s_cbranch_execz .LBB3_27
.LBB3_266:                              ;   Parent Loop BB3_17 Depth=1
                                        ;     Parent Loop BB3_28 Depth=2
                                        ; =>    This Inner Loop Header: Depth=3
	v_cmp_le_i32_e32 vcc, s68, v15
	v_cmp_gt_i32_e64 s[16:17], s70, v15
	s_and_b64 s[34:35], vcc, s[16:17]
	s_waitcnt vmcnt(0)
	v_mov_b32_e32 v2, 0
	s_and_saveexec_b64 s[16:17], s[34:35]
	s_cbranch_execz .LBB3_265
; %bb.267:                              ;   in Loop: Header=BB3_266 Depth=3
	global_load_dword v2, v[22:23], off
	s_branch .LBB3_265
.LBB3_268:
	s_and_saveexec_b64 s[2:3], s[0:1]
	s_cbranch_execz .LBB3_270
; %bb.269:
	v_mov_b32_e32 v0, 0
	ds_read_b32 v1, v0
	v_readlane_b32 s4, v52, 4
	v_readlane_b32 s6, v52, 6
	;; [unrolled: 1-line block ×6, first 2 shown]
	s_mov_b64 s[6:7], s[10:11]
	v_readlane_b32 s1, v52, 1
	s_add_u32 s0, s6, s0
	s_addc_u32 s1, s7, s1
	v_readlane_b32 s5, v52, 5
	v_readlane_b32 s8, v52, 8
	;; [unrolled: 1-line block ×3, first 2 shown]
	s_waitcnt lgkmcnt(0)
	global_store_dword v0, v1, s[0:1]
.LBB3_270:
	s_endpgm
	.section	.rodata,"a",@progbits
	.p2align	6, 0x0
	.amdhsa_kernel _ZN9rocsolver6v33100L12stein_kernelI19rocblas_complex_numIfEfPS3_EEviPT0_lS6_lPiS6_lS7_lS7_lT1_iilS7_lS7_S6_S7_S5_S5_
		.amdhsa_group_segment_fixed_size 8
		.amdhsa_private_segment_fixed_size 0
		.amdhsa_kernarg_size 168
		.amdhsa_user_sgpr_count 6
		.amdhsa_user_sgpr_private_segment_buffer 1
		.amdhsa_user_sgpr_dispatch_ptr 0
		.amdhsa_user_sgpr_queue_ptr 0
		.amdhsa_user_sgpr_kernarg_segment_ptr 1
		.amdhsa_user_sgpr_dispatch_id 0
		.amdhsa_user_sgpr_flat_scratch_init 0
		.amdhsa_user_sgpr_kernarg_preload_length 0
		.amdhsa_user_sgpr_kernarg_preload_offset 0
		.amdhsa_user_sgpr_private_segment_size 0
		.amdhsa_uses_dynamic_stack 0
		.amdhsa_system_sgpr_private_segment_wavefront_offset 0
		.amdhsa_system_sgpr_workgroup_id_x 1
		.amdhsa_system_sgpr_workgroup_id_y 1
		.amdhsa_system_sgpr_workgroup_id_z 0
		.amdhsa_system_sgpr_workgroup_info 0
		.amdhsa_system_vgpr_workitem_id 0
		.amdhsa_next_free_vgpr 53
		.amdhsa_next_free_sgpr 96
		.amdhsa_accum_offset 56
		.amdhsa_reserve_vcc 1
		.amdhsa_reserve_flat_scratch 0
		.amdhsa_float_round_mode_32 0
		.amdhsa_float_round_mode_16_64 0
		.amdhsa_float_denorm_mode_32 3
		.amdhsa_float_denorm_mode_16_64 3
		.amdhsa_dx10_clamp 1
		.amdhsa_ieee_mode 1
		.amdhsa_fp16_overflow 0
		.amdhsa_tg_split 0
		.amdhsa_exception_fp_ieee_invalid_op 0
		.amdhsa_exception_fp_denorm_src 0
		.amdhsa_exception_fp_ieee_div_zero 0
		.amdhsa_exception_fp_ieee_overflow 0
		.amdhsa_exception_fp_ieee_underflow 0
		.amdhsa_exception_fp_ieee_inexact 0
		.amdhsa_exception_int_div_zero 0
	.end_amdhsa_kernel
	.section	.text._ZN9rocsolver6v33100L12stein_kernelI19rocblas_complex_numIfEfPS3_EEviPT0_lS6_lPiS6_lS7_lS7_lT1_iilS7_lS7_S6_S7_S5_S5_,"axG",@progbits,_ZN9rocsolver6v33100L12stein_kernelI19rocblas_complex_numIfEfPS3_EEviPT0_lS6_lPiS6_lS7_lS7_lT1_iilS7_lS7_S6_S7_S5_S5_,comdat
.Lfunc_end3:
	.size	_ZN9rocsolver6v33100L12stein_kernelI19rocblas_complex_numIfEfPS3_EEviPT0_lS6_lPiS6_lS7_lS7_lT1_iilS7_lS7_S6_S7_S5_S5_, .Lfunc_end3-_ZN9rocsolver6v33100L12stein_kernelI19rocblas_complex_numIfEfPS3_EEviPT0_lS6_lPiS6_lS7_lS7_lT1_iilS7_lS7_S6_S7_S5_S5_
                                        ; -- End function
	.section	.AMDGPU.csdata,"",@progbits
; Kernel info:
; codeLenInByte = 10912
; NumSgprs: 100
; NumVgprs: 53
; NumAgprs: 0
; TotalNumVgprs: 53
; ScratchSize: 0
; MemoryBound: 0
; FloatMode: 240
; IeeeMode: 1
; LDSByteSize: 8 bytes/workgroup (compile time only)
; SGPRBlocks: 12
; VGPRBlocks: 6
; NumSGPRsForWavesPerEU: 100
; NumVGPRsForWavesPerEU: 53
; AccumOffset: 56
; Occupancy: 8
; WaveLimiterHint : 1
; COMPUTE_PGM_RSRC2:SCRATCH_EN: 0
; COMPUTE_PGM_RSRC2:USER_SGPR: 6
; COMPUTE_PGM_RSRC2:TRAP_HANDLER: 0
; COMPUTE_PGM_RSRC2:TGID_X_EN: 1
; COMPUTE_PGM_RSRC2:TGID_Y_EN: 1
; COMPUTE_PGM_RSRC2:TGID_Z_EN: 0
; COMPUTE_PGM_RSRC2:TIDIG_COMP_CNT: 0
; COMPUTE_PGM_RSRC3_GFX90A:ACCUM_OFFSET: 13
; COMPUTE_PGM_RSRC3_GFX90A:TG_SPLIT: 0
	.section	.text._ZN9rocsolver6v33100L12stein_kernelI19rocblas_complex_numIdEdPS3_EEviPT0_lS6_lPiS6_lS7_lS7_lT1_iilS7_lS7_S6_S7_S5_S5_,"axG",@progbits,_ZN9rocsolver6v33100L12stein_kernelI19rocblas_complex_numIdEdPS3_EEviPT0_lS6_lPiS6_lS7_lS7_lT1_iilS7_lS7_S6_S7_S5_S5_,comdat
	.globl	_ZN9rocsolver6v33100L12stein_kernelI19rocblas_complex_numIdEdPS3_EEviPT0_lS6_lPiS6_lS7_lS7_lT1_iilS7_lS7_S6_S7_S5_S5_ ; -- Begin function _ZN9rocsolver6v33100L12stein_kernelI19rocblas_complex_numIdEdPS3_EEviPT0_lS6_lPiS6_lS7_lS7_lT1_iilS7_lS7_S6_S7_S5_S5_
	.p2align	8
	.type	_ZN9rocsolver6v33100L12stein_kernelI19rocblas_complex_numIdEdPS3_EEviPT0_lS6_lPiS6_lS7_lS7_lT1_iilS7_lS7_S6_S7_S5_S5_,@function
_ZN9rocsolver6v33100L12stein_kernelI19rocblas_complex_numIdEdPS3_EEviPT0_lS6_lPiS6_lS7_lS7_lT1_iilS7_lS7_S6_S7_S5_S5_: ; @_ZN9rocsolver6v33100L12stein_kernelI19rocblas_complex_numIdEdPS3_EEviPT0_lS6_lPiS6_lS7_lS7_lT1_iilS7_lS7_S6_S7_S5_S5_
; %bb.0:
	s_load_dwordx16 s[36:51], s[4:5], 0x8
	s_mov_b32 s8, s7
	s_ashr_i32 s9, s7, 31
	s_lshl_b64 s[2:3], s[8:9], 2
	s_waitcnt lgkmcnt(0)
	s_add_u32 s0, s44, s2
	s_addc_u32 s1, s45, s3
	s_load_dword s60, s[0:1], 0x0
	s_waitcnt lgkmcnt(0)
	s_cmp_lt_i32 s60, 1
	s_cbranch_scc1 .LBB4_249
; %bb.1:
	s_load_dwordx16 s[12:27], s[4:5], 0x70
                                        ; implicit-def: $vgpr64 : SGPR spill to VGPR lane
	s_mov_b64 s[28:29], 0
	v_writelane_b32 v64, s2, 0
	v_writelane_b32 v64, s3, 1
	s_waitcnt lgkmcnt(0)
	s_cmp_eq_u64 s[14:15], 0
	s_cbranch_scc1 .LBB4_3
; %bb.2:
	s_mul_i32 s0, s8, s17
	s_mul_hi_u32 s1, s8, s16
	s_add_i32 s0, s1, s0
	s_mul_i32 s1, s9, s16
	s_add_i32 s1, s0, s1
	s_mul_i32 s0, s8, s16
	s_lshl_b64 s[0:1], s[0:1], 2
	s_add_u32 s28, s14, s0
	s_addc_u32 s29, s15, s1
.LBB4_3:
	v_cmp_eq_u32_e64 s[0:1], 0, v0
	s_and_saveexec_b64 s[2:3], s[0:1]
	s_cbranch_execz .LBB4_5
; %bb.4:
	v_mov_b32_e32 v1, 0
	ds_write_b32 v1, v1
.LBB4_5:
	s_or_b64 exec, exec, s[2:3]
	s_cmp_lg_u64 s[28:29], 0
	s_cselect_b64 s[6:7], -1, 0
	v_cmp_gt_u32_e32 vcc, s60, v0
	s_and_b64 s[2:3], vcc, s[6:7]
	s_and_saveexec_b64 s[10:11], s[2:3]
	s_cbranch_execz .LBB4_13
; %bb.6:
	v_or_b32_e32 v1, 0x100, v0
	v_max_i32_e32 v2, s60, v1
	v_xad_u32 v3, v0, -1, v2
	s_movk_i32 s2, 0x2ff
	v_cmp_lt_u32_e32 vcc, s2, v3
	s_mov_b64 s[2:3], -1
	v_mov_b32_e32 v2, v0
	s_and_saveexec_b64 s[14:15], vcc
	s_cbranch_execz .LBB4_10
; %bb.7:
	v_lshrrev_b32_e32 v2, 8, v3
	v_add_u32_e32 v6, 1, v2
	v_and_b32_e32 v7, 0x1fffffc, v6
	s_mov_b64 s[16:17], 0
	v_mov_b32_e32 v8, s29
	v_mov_b32_e32 v3, 0
	;; [unrolled: 1-line block ×3, first 2 shown]
	v_pk_mov_b32 v[4:5], v[0:1], v[0:1] op_sel:[0,1]
.LBB4_8:                                ; =>This Inner Loop Header: Depth=1
	v_mov_b32_e32 v2, v4
	v_lshlrev_b64 v[14:15], 2, v[2:3]
	v_add_u32_e32 v12, 0x200, v4
	v_mov_b32_e32 v13, v3
	v_add_co_u32_e64 v14, s[2:3], s28, v14
	v_lshlrev_b64 v[12:13], 2, v[12:13]
	v_addc_co_u32_e64 v15, s[2:3], v8, v15, s[2:3]
	v_add_u32_e32 v10, 0x200, v5
	v_mov_b32_e32 v11, v3
	v_add_u32_e32 v9, -4, v9
	v_mov_b32_e32 v2, v5
	v_add_co_u32_e64 v12, s[2:3], s28, v12
	v_lshlrev_b64 v[10:11], 2, v[10:11]
	v_cmp_eq_u32_e32 vcc, 0, v9
	v_lshlrev_b64 v[16:17], 2, v[2:3]
	v_addc_co_u32_e64 v13, s[2:3], v8, v13, s[2:3]
	v_add_u32_e32 v4, 0x400, v4
	v_add_u32_e32 v5, 0x400, v5
	v_add_co_u32_e64 v10, s[2:3], s28, v10
	s_or_b64 s[16:17], vcc, s[16:17]
	v_add_co_u32_e32 v16, vcc, s28, v16
	v_addc_co_u32_e64 v11, s[2:3], v8, v11, s[2:3]
	v_addc_co_u32_e32 v17, vcc, v8, v17, vcc
	flat_store_dword v[14:15], v3
	flat_store_dword v[16:17], v3
	;; [unrolled: 1-line block ×4, first 2 shown]
	s_andn2_b64 exec, exec, s[16:17]
	s_cbranch_execnz .LBB4_8
; %bb.9:
	s_or_b64 exec, exec, s[16:17]
	v_cmp_ne_u32_e32 vcc, v6, v7
	v_lshl_or_b32 v2, v7, 8, v0
	s_orn2_b64 s[2:3], vcc, exec
.LBB4_10:
	s_or_b64 exec, exec, s[14:15]
	s_and_b64 exec, exec, s[2:3]
	s_cbranch_execz .LBB4_13
; %bb.11:
	v_mov_b32_e32 v3, 0
	v_lshlrev_b64 v[4:5], 2, v[2:3]
	v_mov_b32_e32 v1, s29
	v_add_co_u32_e32 v4, vcc, s28, v4
	v_addc_co_u32_e32 v5, vcc, v1, v5, vcc
	s_mov_b64 s[14:15], 0
.LBB4_12:                               ; =>This Inner Loop Header: Depth=1
	v_add_u32_e32 v2, 0x100, v2
	flat_store_dword v[4:5], v3
	v_add_co_u32_e32 v4, vcc, 0x400, v4
	v_cmp_le_i32_e64 s[2:3], s60, v2
	s_or_b64 s[14:15], s[2:3], s[14:15]
	v_addc_co_u32_e32 v5, vcc, 0, v5, vcc
	s_andn2_b64 exec, exec, s[14:15]
	s_cbranch_execnz .LBB4_12
.LBB4_13:
	v_writelane_b32 v64, s28, 2
	v_writelane_b32 v64, s29, 3
	s_or_b64 exec, exec, s[10:11]
	s_load_dwordx8 s[52:59], s[4:5], 0x48
	s_mov_b32 s17, 0
	s_mov_b32 s61, s17
	v_mov_b32_e32 v4, 0
	s_waitcnt lgkmcnt(0)
	s_mul_i32 s3, s8, s53
	s_mul_hi_u32 s10, s8, s52
	s_mul_i32 s11, s9, s52
	s_add_i32 s3, s10, s3
	s_mul_i32 s2, s8, s52
	s_add_i32 s3, s3, s11
	s_lshl_b64 s[2:3], s[2:3], 2
	s_add_u32 s33, s50, s2
	s_addc_u32 s28, s51, s3
	s_lshl_b64 s[2:3], s[60:61], 2
	s_add_u32 s2, s33, s2
	s_addc_u32 s3, s28, s3
	v_writelane_b32 v64, s2, 4
	v_writelane_b32 v64, s3, 5
	s_nop 3
	global_load_dword v5, v4, s[2:3] offset:-4
	s_waitcnt vmcnt(0)
	v_cmp_gt_i32_e32 vcc, 1, v5
	s_cbranch_vccnz .LBB4_247
; %bb.14:
	s_load_dword s50, s[4:5], 0x0
	s_load_dwordx2 s[52:53], s[4:5], 0x68
	s_mul_i32 s2, s8, s39
	s_mul_hi_u32 s3, s8, s38
	s_add_i32 s2, s3, s2
	s_mul_i32 s3, s9, s38
	s_add_i32 s3, s2, s3
	s_mul_i32 s2, s8, s38
	s_waitcnt lgkmcnt(0)
	s_ashr_i32 s51, s50, 31
	s_lshl_b64 s[2:3], s[2:3], 3
	s_add_u32 s38, s36, s2
	s_addc_u32 s39, s37, s3
	s_mul_i32 s2, s8, s43
	s_mul_hi_u32 s3, s8, s42
	s_add_i32 s2, s3, s2
	s_mul_i32 s3, s9, s42
	s_add_i32 s3, s2, s3
	s_mul_i32 s2, s8, s42
	s_lshl_b64 s[2:3], s[2:3], 3
	s_add_u32 s42, s40, s2
	s_addc_u32 s43, s41, s3
	s_mul_i32 s2, s8, s49
	s_mul_hi_u32 s3, s8, s48
	s_add_i32 s2, s3, s2
	s_mul_i32 s3, s9, s48
	s_add_i32 s3, s2, s3
	s_mul_i32 s2, s8, s48
	;; [unrolled: 9-line block ×3, first 2 shown]
	s_lshl_b64 s[2:3], s[2:3], 2
	s_mul_i32 s4, s50, 5
	s_add_u32 s44, s54, s2
	s_addc_u32 s89, s55, s3
	s_mul_hi_i32 s3, s4, s8
	s_mul_i32 s2, s4, s8
	s_lshl_b64 s[10:11], s[2:3], 3
	s_add_u32 s36, s20, s10
	s_mul_hi_i32 s5, s50, s8
	s_mul_i32 s4, s50, s8
	s_addc_u32 s37, s21, s11
	s_lshl_b64 s[4:5], s[4:5], 2
	s_add_u32 s74, s22, s4
	s_mul_i32 s13, s8, s13
	s_mul_hi_u32 s14, s8, s12
	s_addc_u32 s75, s23, s5
	s_add_i32 s13, s14, s13
	s_mul_i32 s9, s9, s12
	s_add_i32 s9, s13, s9
	s_mul_i32 s8, s8, s12
	s_ashr_i32 s5, s52, 31
	s_lshl_b64 s[8:9], s[8:9], 4
	s_mov_b32 s4, s52
	s_add_u32 s8, s58, s8
	s_addc_u32 s9, s59, s9
	s_lshl_b64 s[4:5], s[4:5], 4
	s_add_u32 s52, s8, s4
	s_mul_i32 s22, s50, 3
	s_addc_u32 s56, s9, s5
	s_ashr_i32 s23, s22, 31
	s_lshl_b64 s[12:13], s[22:23], 3
	s_add_u32 s40, s36, s12
	s_addc_u32 s41, s37, s13
	s_lshl_b64 s[4:5], s[50:51], 4
	s_sub_u32 s14, s40, s4
	s_subb_u32 s15, s41, s5
	s_lshl_b64 s[8:9], s[50:51], 3
	s_add_u32 s46, s14, s8
	v_writelane_b32 v64, s14, 6
	s_addc_u32 s47, s15, s9
	s_add_u32 s48, s46, s4
	v_writelane_b32 v64, s15, 7
	s_addc_u32 s49, s47, s5
	s_add_i32 s14, 8, 0x1000
	s_mul_i32 s16, s50, 0xffffffe8
	s_mul_hi_i32 s15, s50, 0xffffffe8
	s_add_u32 s16, s48, s16
	s_addc_u32 s15, s49, s15
	s_add_u32 s54, s16, 8
	s_addc_u32 s55, s15, 0
	s_and_b64 s[6:7], s[0:1], s[6:7]
	v_writelane_b32 v64, s6, 8
	v_writelane_b32 v64, s7, 9
	s_add_u32 s6, s44, -4
	v_writelane_b32 v64, s6, 10
	s_addc_u32 s6, s89, -1
	s_add_u32 s16, s38, -8
	s_addc_u32 s45, s39, -1
	v_writelane_b32 v64, s6, 11
	s_add_u32 s6, s42, -16
	v_writelane_b32 v64, s6, 12
	s_addc_u32 s6, s43, -1
	v_writelane_b32 v64, s6, 13
	s_add_u32 s6, s36, -8
	v_writelane_b32 v64, s6, 14
	s_addc_u32 s6, s37, -1
	v_writelane_b32 v64, s6, 15
	s_add_u32 s6, s42, 8
	v_writelane_b32 v64, s6, 16
	s_addc_u32 s6, s43, 0
	v_writelane_b32 v64, s6, 17
	s_add_u32 s6, s38, 8
	v_writelane_b32 v64, s6, 18
	s_addc_u32 s6, s39, 0
	s_add_u32 s10, s10, s12
	s_addc_u32 s11, s11, s13
	s_add_u32 s12, s10, s20
	s_addc_u32 s13, s11, s21
	s_lshl_b32 s57, s50, 1
	v_writelane_b32 v64, s6, 19
	s_sub_u32 s6, s10, s4
	s_subb_u32 s7, s11, s5
	v_writelane_b32 v64, s6, 20
	v_writelane_b32 v64, s7, 21
	s_add_u32 s2, s2, s22
	v_writelane_b32 v64, s22, 22
	s_addc_u32 s3, s3, s23
	s_add_u32 s6, s2, s50
	s_addc_u32 s7, s3, s51
	v_writelane_b32 v64, s23, 23
	s_lshl_b64 s[6:7], s[6:7], 3
	v_writelane_b32 v64, s6, 24
	s_lshl_b64 s[2:3], s[2:3], 3
	v_writelane_b32 v64, s7, 25
	s_sub_u32 s6, s2, s8
	s_subb_u32 s7, s3, s9
	v_writelane_b32 v64, s6, 26
	v_writelane_b32 v64, s7, 27
	s_add_u32 s6, s10, 8
	s_addc_u32 s7, s11, 0
	v_writelane_b32 v64, s6, 28
	v_writelane_b32 v64, s7, 29
	v_div_scale_f64 v[2:3], s[6:7], s[26:27], s[26:27], 1.0
	v_rcp_f64_e32 v[6:7], v[2:3]
	v_mov_b32_e32 v1, s37
	s_add_u32 s66, s12, 16
	v_writelane_b32 v64, s39, 30
	v_fma_f64 v[8:9], -v[2:3], v[6:7], 1.0
	v_fmac_f64_e32 v[6:7], v[6:7], v[8:9]
	v_fma_f64 v[8:9], -v[2:3], v[6:7], 1.0
	v_fmac_f64_e32 v[6:7], v[6:7], v[8:9]
	v_div_scale_f64 v[8:9], vcc, 1.0, s[26:27], 1.0
	v_mul_f64 v[10:11], v[8:9], v[6:7]
	v_fma_f64 v[2:3], -v[2:3], v[10:11], v[8:9]
	v_lshlrev_b32_e32 v8, 3, v0
	s_nop 0
	v_div_fmas_f64 v[2:3], v[2:3], v[6:7], v[10:11]
	v_add_co_u32_e32 v10, vcc, s36, v8
	v_addc_co_u32_e32 v11, vcc, 0, v1, vcc
	v_add_u32_e32 v6, s50, v0
	s_addc_u32 s67, s13, 0
	v_mov_b32_e32 v1, s13
	v_add_co_u32_e32 v12, vcc, s12, v8
	v_ashrrev_i32_e32 v7, 31, v6
	v_writelane_b32 v64, s38, 31
	s_sub_u32 s2, s2, s4
	v_addc_co_u32_e32 v13, vcc, 0, v1, vcc
	v_lshlrev_b64 v[6:7], 3, v[6:7]
	v_writelane_b32 v64, s43, 32
	s_subb_u32 s3, s3, s5
	v_mov_b32_e32 v1, s37
	v_add_co_u32_e32 v6, vcc, s36, v6
	v_writelane_b32 v64, s42, 33
	v_addc_co_u32_e32 v1, vcc, v1, v7, vcc
	s_add_u32 s2, s2, s20
	v_writelane_b32 v64, s44, 34
	v_add_co_u32_e32 v14, vcc, 8, v6
	s_addc_u32 s3, s3, s21
	v_writelane_b32 v64, s16, 35
	v_addc_co_u32_e32 v15, vcc, 0, v1, vcc
	v_lshlrev_b32_e32 v1, 2, v0
	s_add_u32 s68, s2, 16
	v_max_f64 v[6:7], s[24:25], s[24:25]
	v_add_u32_e32 v49, 8, v8
	s_movk_i32 s2, 0x80
	v_cmp_gt_i32_e64 s[62:63], s50, v0
	s_mov_b32 s76, 0xff800000
	v_writelane_b32 v64, s45, 36
	v_add_u32_e32 v48, s14, v1
	s_addc_u32 s69, s3, 0
	v_max_f64 v[16:17], v[6:7], 0
	v_sub_u32_e32 v50, v49, v1
	v_div_fixup_f64 v[18:19], v[2:3], s[26:27], 1.0
	v_mov_b32_e32 v51, 0x260
	v_mov_b32_e32 v52, 1
	;; [unrolled: 1-line block ×4, first 2 shown]
	v_cmp_gt_u32_e64 s[2:3], s2, v0
	s_brev_b32 s51, -2
	s_mov_b32 s78, 0x5e4789c9
	s_mov_b32 s79, 0xbc8f
	s_movk_i32 s34, 0xf2b9
	s_mov_b32 s35, 0x4f7a09cd
	s_mov_b32 s31, 0x9ef4
	s_movk_i32 s29, 0xf131
	s_movk_i32 s6, 0x800
	s_mov_b32 s30, 0
	v_cmp_gt_u32_e64 s[4:5], 64, v0
	s_mov_b32 s77, 0x41dfffff
	s_mov_b32 s80, s17
	v_writelane_b32 v64, s62, 37
                                        ; implicit-def: $vgpr20_vgpr21
                                        ; implicit-def: $vgpr26_vgpr27
                                        ; implicit-def: $vgpr24_vgpr25
                                        ; implicit-def: $vgpr22_vgpr23
                                        ; implicit-def: $sgpr7
	v_writelane_b32 v64, s63, 38
	s_branch .LBB4_17
.LBB4_15:                               ;   in Loop: Header=BB4_17 Depth=1
	v_readlane_b32 s8, v64, 4
	v_readlane_b32 s9, v64, 5
	s_mov_b32 s30, s14
	v_readlane_b32 s38, v64, 31
	v_readlane_b32 s39, v64, 30
	;; [unrolled: 1-line block ×4, first 2 shown]
	global_load_dword v5, v4, s[8:9] offset:-4
	v_readlane_b32 s44, v64, 34
	v_readlane_b32 s16, v64, 35
	;; [unrolled: 1-line block ×3, first 2 shown]
.LBB4_16:                               ;   in Loop: Header=BB4_17 Depth=1
	s_add_i32 s80, s80, 1
	s_waitcnt vmcnt(0)
	v_cmp_ge_i32_e32 vcc, s80, v5
	s_cbranch_vccnz .LBB4_247
.LBB4_17:                               ; =>This Loop Header: Depth=1
                                        ;     Child Loop BB4_22 Depth 2
                                        ;     Child Loop BB4_27 Depth 2
                                        ;       Child Loop BB4_38 Depth 3
                                        ;       Child Loop BB4_41 Depth 3
	;; [unrolled: 1-line block ×5, first 2 shown]
                                        ;         Child Loop BB4_110 Depth 4
                                        ;         Child Loop BB4_113 Depth 4
	;; [unrolled: 1-line block ×4, first 2 shown]
                                        ;           Child Loop BB4_130 Depth 5
                                        ;         Child Loop BB4_142 Depth 4
                                        ;           Child Loop BB4_143 Depth 5
                                        ;           Child Loop BB4_145 Depth 5
                                        ;         Child Loop BB4_150 Depth 4
                                        ;       Child Loop BB4_191 Depth 3
                                        ;       Child Loop BB4_228 Depth 3
	;; [unrolled: 1-line block ×4, first 2 shown]
	s_mov_b32 s82, 0
	s_cmp_eq_u32 s80, 0
	s_mov_b64 s[8:9], 0
	s_cbranch_scc1 .LBB4_19
; %bb.18:                               ;   in Loop: Header=BB4_17 Depth=1
	s_mov_b32 s81, s17
	s_lshl_b64 s[8:9], s[80:81], 2
	v_readlane_b32 s10, v64, 10
	s_add_u32 s8, s10, s8
	v_readlane_b32 s10, v64, 11
	s_addc_u32 s9, s10, s9
	global_load_dword v2, v4, s[8:9]
	s_mov_b64 s[8:9], s[80:81]
	s_waitcnt vmcnt(0)
	v_readfirstlane_b32 s82, v2
.LBB4_19:                               ;   in Loop: Header=BB4_17 Depth=1
	s_lshl_b64 s[8:9], s[8:9], 2
	s_add_u32 s8, s44, s8
	s_addc_u32 s9, s89, s9
	global_load_dword v2, v4, s[8:9]
	s_not_b32 s8, s82
	s_waitcnt vmcnt(0)
	v_readfirstlane_b32 s84, v2
	s_add_i32 s86, s8, s84
	s_cmp_lt_i32 s86, 1
	s_cselect_b64 s[64:65], -1, 0
	v_subrev_u32_e32 v55, s82, v2
	s_and_b64 vcc, exec, s[64:65]
	s_cbranch_vccnz .LBB4_24
; %bb.20:                               ;   in Loop: Header=BB4_17 Depth=1
	s_ashr_i32 s83, s82, 31
	s_lshl_b64 s[10:11], s[82:83], 3
	s_add_u32 s8, s38, s10
	s_addc_u32 s9, s39, s11
	s_add_u32 s12, s42, s10
	s_addc_u32 s13, s43, s11
	s_ashr_i32 s85, s84, 31
	s_lshl_b64 s[14:15], s[84:85], 3
	s_add_u32 s22, s16, s14
	s_addc_u32 s23, s45, s15
	s_add_i32 s7, s84, -2
	v_readlane_b32 s58, v64, 12
	s_add_u32 s14, s58, s14
	v_readlane_b32 s58, v64, 13
	s_addc_u32 s15, s58, s15
	global_load_dwordx2 v[6:7], v4, s[8:9]
	global_load_dwordx2 v[2:3], v4, s[12:13]
	;; [unrolled: 1-line block ×4, first 2 shown]
	s_cmp_ge_i32 s82, s7
	s_waitcnt vmcnt(2)
	v_add_f64 v[6:7], |v[6:7]|, |v[2:3]|
	s_waitcnt vmcnt(0)
	v_add_f64 v[8:9], |v[8:9]|, |v[22:23]|
	v_cmp_lt_f64_e32 vcc, v[6:7], v[8:9]
	v_cndmask_b32_e32 v23, v7, v9, vcc
	v_cndmask_b32_e32 v22, v6, v8, vcc
	s_cbranch_scc1 .LBB4_23
; %bb.21:                               ;   in Loop: Header=BB4_17 Depth=1
	v_readlane_b32 s8, v64, 16
	s_add_u32 s8, s8, s10
	v_readlane_b32 s9, v64, 17
	s_addc_u32 s9, s9, s11
	v_readlane_b32 s12, v64, 18
	s_add_u32 s10, s12, s10
	v_readlane_b32 s12, v64, 19
	s_addc_u32 s11, s12, s11
	s_mov_b32 s12, s82
.LBB4_22:                               ;   Parent Loop BB4_17 Depth=1
                                        ; =>  This Inner Loop Header: Depth=2
	global_load_dwordx2 v[6:7], v4, s[10:11]
	s_add_i32 s12, s12, 1
	s_waitcnt vmcnt(0)
	v_add_f64 v[6:7], |v[2:3]|, |v[6:7]|
	global_load_dwordx2 v[2:3], v4, s[8:9]
	s_add_u32 s8, s8, 8
	s_addc_u32 s9, s9, 0
	s_add_u32 s10, s10, 8
	s_addc_u32 s11, s11, 0
	s_cmp_lt_i32 s12, s7
	s_waitcnt vmcnt(0)
	v_add_f64 v[6:7], v[6:7], |v[2:3]|
	v_cmp_lt_f64_e32 vcc, v[22:23], v[6:7]
	v_cndmask_b32_e32 v23, v23, v7, vcc
	v_cndmask_b32_e32 v22, v22, v6, vcc
	s_cbranch_scc1 .LBB4_22
.LBB4_23:                               ;   in Loop: Header=BB4_17 Depth=1
	s_mov_b32 s10, 0x9999999a
	v_cvt_f64_u32_e32 v[2:3], v55
	s_mov_b32 s11, 0x3fb99999
	v_div_scale_f64 v[6:7], s[8:9], v[2:3], v[2:3], s[10:11]
	v_rcp_f64_e32 v[8:9], v[6:7]
	v_div_scale_f64 v[24:25], vcc, s[10:11], v[2:3], s[10:11]
	s_mov_b32 s8, 0
	v_fma_f64 v[26:27], -v[6:7], v[8:9], 1.0
	v_fmac_f64_e32 v[8:9], v[8:9], v[26:27]
	v_fma_f64 v[26:27], -v[6:7], v[8:9], 1.0
	v_fmac_f64_e32 v[8:9], v[8:9], v[26:27]
	v_mul_f64 v[26:27], v[24:25], v[8:9]
	v_fma_f64 v[6:7], -v[6:7], v[26:27], v[24:25]
	v_div_fmas_f64 v[6:7], v[6:7], v[8:9], v[26:27]
	v_div_fixup_f64 v[2:3], v[6:7], v[2:3], s[10:11]
	s_brev_b32 s9, 8
	v_cmp_gt_f64_e32 vcc, s[8:9], v[2:3]
	v_cndmask_b32_e64 v6, 0, 1, vcc
	v_lshlrev_b32_e32 v6, 8, v6
	v_ldexp_f64 v[2:3], v[2:3], v6
	v_rsq_f64_e32 v[6:7], v[2:3]
	s_mov_b32 s8, 0xd2f1a9fc
	s_mov_b32 s9, 0x3f50624d
	v_mul_f64 v[24:25], v[22:23], s[8:9]
	v_mul_f64 v[8:9], v[2:3], v[6:7]
	v_mul_f64 v[6:7], v[6:7], 0.5
	v_fma_f64 v[26:27], -v[6:7], v[8:9], 0.5
	v_fmac_f64_e32 v[8:9], v[8:9], v[26:27]
	v_fma_f64 v[28:29], -v[8:9], v[8:9], v[2:3]
	v_fmac_f64_e32 v[6:7], v[6:7], v[26:27]
	v_fmac_f64_e32 v[8:9], v[28:29], v[6:7]
	v_fma_f64 v[26:27], -v[8:9], v[8:9], v[2:3]
	s_and_b64 s[8:9], vcc, exec
	v_fmac_f64_e32 v[8:9], v[26:27], v[6:7]
	s_cselect_b32 s7, 0xffffff80, 0
	v_ldexp_f64 v[6:7], v[8:9], s7
	v_cmp_class_f64_e32 vcc, v[2:3], v51
	v_cndmask_b32_e32 v27, v7, v3, vcc
	v_cndmask_b32_e32 v26, v6, v2, vcc
	s_mov_b32 s7, s30
.LBB4_24:                               ;   in Loop: Header=BB4_17 Depth=1
	s_cmp_ge_i32 s30, s60
	s_cbranch_scc1 .LBB4_16
; %bb.25:                               ;   in Loop: Header=BB4_17 Depth=1
	s_mul_i32 s8, s80, s60
	v_writelane_b32 v64, s8, 39
	v_cmp_gt_i32_e64 s[10:11], s86, v0
	s_ashr_i32 s85, s84, 31
	v_writelane_b32 v64, s10, 40
	s_lshl_b64 s[12:13], s[84:85], 3
	v_writelane_b32 v64, s11, 41
	s_add_u32 s10, s16, s12
	s_addc_u32 s11, s45, s13
	v_writelane_b32 v64, s10, 42
	v_writelane_b32 v64, s11, 43
	v_readlane_b32 s10, v64, 22
	s_add_i32 s12, s86, s10
	s_ashr_i32 s13, s12, 31
	s_lshl_b64 s[12:13], s[12:13], 3
	s_add_u32 s92, s36, s12
	s_mov_b32 s87, s17
	s_addc_u32 s93, s37, s13
	s_lshl_b64 s[12:13], s[86:87], 2
	v_cvt_f64_u32_e32 v[2:3], v55
	s_add_u32 s94, s74, s12
	v_mul_f64 v[28:29], v[22:23], v[2:3]
	v_add_u32_e32 v2, s82, v0
	s_addc_u32 s95, s75, s13
	s_add_i32 s85, s86, -1
	s_lshl_b64 s[12:13], s[86:87], 3
	v_ashrrev_i32_e32 v3, 31, v2
	v_readlane_b32 s11, v64, 23
	s_add_u32 s10, s40, s12
	v_lshlrev_b64 v[2:3], 3, v[2:3]
	s_addc_u32 s11, s41, s13
	v_mov_b32_e32 v5, s39
	v_add_co_u32_e32 v30, vcc, s38, v2
	s_cmp_lg_u32 s86, 1
	v_addc_co_u32_e32 v31, vcc, v5, v3, vcc
	s_cselect_b64 s[70:71], -1, 0
	v_mov_b32_e32 v5, s43
	v_add_co_u32_e32 v32, vcc, s42, v2
	s_ashr_i32 s83, s82, 31
	v_writelane_b32 v64, s10, 44
	v_addc_co_u32_e32 v33, vcc, v5, v3, vcc
	s_lshl_b64 s[12:13], s[82:83], 3
	v_writelane_b32 v64, s11, 45
	v_mov_b32_e32 v2, s13
	v_subrev_co_u32_e32 v34, vcc, s12, v10
	v_cmp_ge_i32_e64 s[8:9], s86, v0
	s_sub_i32 s87, s84, s82
	v_subb_co_u32_e32 v35, vcc, v11, v2, vcc
	s_mul_i32 s83, s53, s30
	s_mov_b32 s81, 0
	v_pk_mov_b32 v[2:3], v[20:21], v[20:21] op_sel:[0,1]
	s_mov_b32 s44, s30
	v_writelane_b32 v64, s64, 46
	v_writelane_b32 v64, s65, 47
	s_branch .LBB4_27
.LBB4_26:                               ;   in Loop: Header=BB4_27 Depth=2
	s_or_b64 exec, exec, s[14:15]
	s_add_i32 s81, s81, 1
	s_add_i32 s44, s44, 1
	;; [unrolled: 1-line block ×3, first 2 shown]
	s_cmp_ge_i32 s44, s60
	s_cselect_b64 s[12:13], -1, 0
	s_mov_b32 s14, s30
	s_waitcnt vmcnt(0)
	v_pk_mov_b32 v[2:3], v[20:21], v[20:21] op_sel:[0,1]
	s_barrier
	s_and_b64 vcc, exec, s[12:13]
	s_cbranch_vccnz .LBB4_15
.LBB4_27:                               ;   Parent Loop BB4_17 Depth=1
                                        ; =>  This Loop Header: Depth=2
                                        ;       Child Loop BB4_38 Depth 3
                                        ;       Child Loop BB4_41 Depth 3
	;; [unrolled: 1-line block ×5, first 2 shown]
                                        ;         Child Loop BB4_110 Depth 4
                                        ;         Child Loop BB4_113 Depth 4
	;; [unrolled: 1-line block ×4, first 2 shown]
                                        ;           Child Loop BB4_130 Depth 5
                                        ;         Child Loop BB4_142 Depth 4
                                        ;           Child Loop BB4_143 Depth 5
                                        ;           Child Loop BB4_145 Depth 5
                                        ;         Child Loop BB4_150 Depth 4
                                        ;       Child Loop BB4_191 Depth 3
                                        ;       Child Loop BB4_228 Depth 3
	;; [unrolled: 1-line block ×4, first 2 shown]
	s_ashr_i32 s45, s44, 31
	s_lshl_b64 s[12:13], s[44:45], 2
	s_add_u32 s12, s33, s12
	s_addc_u32 s13, s28, s13
	global_load_dword v5, v4, s[12:13]
	s_waitcnt vmcnt(0)
	v_add_u32_e32 v5, -1, v5
	v_cmp_ne_u32_e32 vcc, s80, v5
	s_cbranch_vccnz .LBB4_32
; %bb.28:                               ;   in Loop: Header=BB4_27 Depth=2
	s_lshl_b64 s[12:13], s[44:45], 3
	s_add_u32 s12, s61, s12
	s_addc_u32 s13, s88, s13
	global_load_dwordx2 v[20:21], v4, s[12:13]
	s_and_b64 vcc, exec, s[64:65]
	s_cbranch_vccz .LBB4_33
; %bb.29:                               ;   in Loop: Header=BB4_27 Depth=2
	s_and_saveexec_b64 s[12:13], s[0:1]
	s_cbranch_execz .LBB4_31
; %bb.30:                               ;   in Loop: Header=BB4_27 Depth=2
	v_mov_b32_e32 v5, v53
	global_store_dwordx2 v4, v[4:5], s[36:37]
.LBB4_31:                               ;   in Loop: Header=BB4_27 Depth=2
	s_or_b64 exec, exec, s[12:13]
	s_barrier
	s_branch .LBB4_242
.LBB4_32:                               ;   in Loop: Header=BB4_27 Depth=2
                                        ; implicit-def: $sgpr81
                                        ; implicit-def: $sgpr83
	s_mov_b32 s14, s44
	v_pk_mov_b32 v[20:21], v[2:3], v[2:3] op_sel:[0,1]
	s_cbranch_execz .LBB4_27
	s_branch .LBB4_15
.LBB4_33:                               ;   in Loop: Header=BB4_27 Depth=2
	s_cbranch_execz .LBB4_242
; %bb.34:                               ;   in Loop: Header=BB4_27 Depth=2
	v_readlane_b32 s10, v64, 39
	s_add_i32 s12, s44, s10
	v_lshl_or_b32 v6, s12, 8, v0
	v_add_u32_e32 v5, 1, v6
	s_mov_b32 s10, 0x40000001
	v_mul_hi_i32 v7, v5, s10
	v_lshrrev_b32_e32 v8, 31, v7
	v_ashrrev_i32_e32 v7, 29, v7
	v_add_u32_e32 v7, v7, v8
	v_mul_lo_u32 v7, v7, s51
	v_sub_u32_e32 v5, v5, v7
	v_max_i32_e32 v5, 1, v5
	s_mov_b32 s10, 0x7ffffffe
	v_cmp_ne_u32_e32 vcc, s10, v6
	v_mov_b32_e32 v8, v5
	s_and_saveexec_b64 s[12:13], vcc
; %bb.35:                               ;   in Loop: Header=BB4_27 Depth=2
	v_sub_u32_e32 v6, 0x7ffffffe, v6
	s_mov_b32 s10, 0x4000007d
	v_mul_hi_i32 v7, v6, s10
	v_lshrrev_b32_e32 v8, 31, v7
	v_ashrrev_i32_e32 v7, 29, v7
	v_add_u32_e32 v7, v7, v8
	s_mov_b32 s10, 0x7fffff07
	v_mul_lo_u32 v7, v7, s10
	v_sub_u32_e32 v6, v6, v7
	v_max_i32_e32 v8, 1, v6
; %bb.36:                               ;   in Loop: Header=BB4_27 Depth=2
	s_or_b64 exec, exec, s[12:13]
	s_and_saveexec_b64 s[12:13], s[8:9]
	s_cbranch_execz .LBB4_39
; %bb.37:                               ;   in Loop: Header=BB4_27 Depth=2
	s_mov_b64 s[14:15], 0
	v_pk_mov_b32 v[6:7], v[10:11], v[10:11] op_sel:[0,1]
	v_mov_b32_e32 v9, v0
.LBB4_38:                               ;   Parent Loop BB4_17 Depth=1
                                        ;     Parent Loop BB4_27 Depth=2
                                        ; =>    This Inner Loop Header: Depth=3
	v_mul_hi_i32 v36, v5, s78
	v_mul_hi_i32 v37, v8, s35
	v_lshrrev_b32_e32 v38, 31, v36
	v_ashrrev_i32_e32 v36, 14, v36
	v_lshrrev_b32_e32 v39, 31, v37
	v_ashrrev_i32_e32 v37, 14, v37
	v_add_u32_e32 v36, v36, v38
	v_add_u32_e32 v37, v37, v39
	v_mul_i32_i24_e32 v38, 0xadc8, v36
	v_mul_i32_i24_e32 v39, 0xce26, v37
	v_sub_u32_e32 v5, v5, v38
	v_sub_u32_e32 v8, v8, v39
	v_mul_lo_u32 v5, v5, s79
	v_mul_lo_u32 v8, v8, s31
	v_mad_i32_i24 v5, v36, s34, v5
	v_mad_i32_i24 v8, v37, s29, v8
	v_ashrrev_i32_e32 v36, 31, v5
	v_ashrrev_i32_e32 v37, 31, v8
	v_and_b32_e32 v36, 0x7fffffff, v36
	v_and_b32_e32 v37, 0x7fffff07, v37
	v_add_u32_e32 v5, v36, v5
	v_add_u32_e32 v8, v37, v8
	v_sub_u32_e32 v36, v5, v8
	v_ashrrev_i32_e32 v37, 31, v36
	v_and_b32_e32 v37, 0x7fffffff, v37
	v_add_u32_e32 v36, v37, v36
	v_cvt_f64_i32_e32 v[36:37], v36
	v_div_scale_f64 v[38:39], s[22:23], s[76:77], s[76:77], v[36:37]
	v_rcp_f64_e32 v[42:43], v[38:39]
	v_add_u32_e32 v9, 0x100, v9
	v_cmp_lt_i32_e32 vcc, s86, v9
	s_or_b64 s[14:15], vcc, s[14:15]
	v_fma_f64 v[44:45], -v[38:39], v[42:43], 1.0
	v_fmac_f64_e32 v[42:43], v[42:43], v[44:45]
	v_fma_f64 v[44:45], -v[38:39], v[42:43], 1.0
	v_div_scale_f64 v[40:41], vcc, v[36:37], s[76:77], v[36:37]
	v_fmac_f64_e32 v[42:43], v[42:43], v[44:45]
	v_mul_f64 v[44:45], v[40:41], v[42:43]
	v_fma_f64 v[38:39], -v[38:39], v[44:45], v[40:41]
	s_nop 0
	v_div_fmas_f64 v[38:39], v[38:39], v[42:43], v[44:45]
	v_div_fixup_f64 v[36:37], v[38:39], s[76:77], v[36:37]
	global_store_dwordx2 v[6:7], v[36:37], off
	v_add_co_u32_e32 v6, vcc, 0x800, v6
	v_addc_co_u32_e32 v7, vcc, 0, v7, vcc
	s_andn2_b64 exec, exec, s[14:15]
	s_cbranch_execnz .LBB4_38
.LBB4_39:                               ;   in Loop: Header=BB4_27 Depth=2
	s_or_b64 exec, exec, s[12:13]
	v_readlane_b32 s10, v64, 40
	v_readlane_b32 s11, v64, 41
	s_and_saveexec_b64 s[22:23], s[10:11]
	s_cbranch_execz .LBB4_42
; %bb.40:                               ;   in Loop: Header=BB4_27 Depth=2
	s_mov_b64 s[38:39], 0
	v_pk_mov_b32 v[6:7], v[32:33], v[32:33] op_sel:[0,1]
	v_pk_mov_b32 v[8:9], v[30:31], v[30:31] op_sel:[0,1]
	;; [unrolled: 1-line block ×4, first 2 shown]
	v_mov_b32_e32 v5, v0
.LBB4_41:                               ;   Parent Loop BB4_17 Depth=1
                                        ;     Parent Loop BB4_27 Depth=2
                                        ; =>    This Inner Loop Header: Depth=3
	global_load_dwordx2 v[40:41], v[8:9], off
	v_add_u32_e32 v42, s57, v5
	v_add_u32_e32 v5, 0x100, v5
	v_ashrrev_i32_e32 v43, 31, v42
	v_cmp_le_i32_e32 vcc, s86, v5
	v_lshlrev_b64 v[42:43], 3, v[42:43]
	v_mov_b32_e32 v44, s37
	s_or_b64 s[38:39], vcc, s[38:39]
	v_add_co_u32_e32 v42, vcc, s36, v42
	v_addc_co_u32_e32 v43, vcc, v44, v43, vcc
	s_waitcnt vmcnt(0)
	global_store_dwordx2 v[38:39], v[40:41], off
	global_load_dwordx2 v[40:41], v[6:7], off
	v_add_co_u32_e32 v38, vcc, s6, v38
	v_addc_co_u32_e32 v39, vcc, 0, v39, vcc
	s_waitcnt vmcnt(0)
	global_store_dwordx2 v[42:43], v[40:41], off
	global_store_dwordx2 v[36:37], v[40:41], off
	v_add_co_u32_e32 v36, vcc, s6, v36
	s_mov_b64 s[12:13], vcc
	v_add_co_u32_e32 v8, vcc, 0x800, v8
	s_mov_b64 s[14:15], vcc
	v_addc_co_u32_e64 v37, vcc, 0, v37, s[12:13]
	v_add_co_u32_e32 v6, vcc, 0x800, v6
	v_addc_co_u32_e64 v9, s[12:13], 0, v9, s[14:15]
	v_addc_co_u32_e32 v7, vcc, 0, v7, vcc
	s_andn2_b64 exec, exec, s[38:39]
	s_cbranch_execnz .LBB4_41
.LBB4_42:                               ;   in Loop: Header=BB4_27 Depth=2
	s_or_b64 exec, exec, s[22:23]
	s_and_saveexec_b64 s[12:13], s[0:1]
	s_cbranch_execz .LBB4_44
; %bb.43:                               ;   in Loop: Header=BB4_27 Depth=2
	v_readlane_b32 s10, v64, 42
	v_readlane_b32 s11, v64, 43
	s_nop 4
	global_load_dwordx2 v[6:7], v4, s[10:11]
	s_waitcnt vmcnt(0)
	global_store_dwordx2 v4, v[6:7], s[92:93]
.LBB4_44:                               ;   in Loop: Header=BB4_27 Depth=2
	s_mov_b32 s11, s61
	s_mov_b32 s10, s60
	s_or_b64 exec, exec, s[12:13]
	s_mov_b32 s12, 0
	s_waitcnt vmcnt(0)
	v_mul_f64 v[6:7], v[20:21], s[24:25]
	s_mov_b32 s13, 0x40240000
	s_cmp_lg_u32 s81, 0
	v_mul_f64 v[8:9], |v[6:7]|, s[12:13]
	v_add_f64 v[36:37], v[20:21], -v[2:3]
	s_cselect_b64 s[38:39], -1, 0
	v_fma_f64 v[6:7], |v[6:7]|, s[12:13], v[2:3]
	v_cmp_lt_f64_e32 vcc, v[36:37], v[8:9]
	s_cmp_eq_u32 s81, 0
	v_cndmask_b32_e32 v5, v20, v6, vcc
	v_cndmask_b32_e32 v6, v21, v7, vcc
	s_cselect_b64 vcc, -1, 0
	v_cndmask_b32_e32 v21, v6, v21, vcc
	v_cndmask_b32_e32 v20, v5, v20, vcc
	s_barrier
	s_and_saveexec_b64 s[12:13], s[0:1]
	s_cbranch_execz .LBB4_71
; %bb.45:                               ;   in Loop: Header=BB4_27 Depth=2
	global_load_dwordx2 v[6:7], v4, s[40:41]
	v_readlane_b32 s14, v64, 6
	v_readlane_b32 s15, v64, 7
	;; [unrolled: 1-line block ×5, first 2 shown]
	s_mov_b32 s16, 1
	v_readlane_b32 s73, v64, 27
	s_mov_b64 s[22:23], s[74:75]
	v_readlane_b32 s61, v64, 25
	v_readlane_b32 s59, v64, 21
	global_store_dword v4, v4, s[94:95]
	s_waitcnt vmcnt(1)
	v_add_f64 v[6:7], v[6:7], -v[20:21]
	global_store_dwordx2 v4, v[6:7], s[40:41]
	global_load_dwordx2 v[8:9], v4, s[14:15] offset:8
	v_readlane_b32 s14, v64, 28
	v_readlane_b32 s15, v64, 29
	s_waitcnt vmcnt(0)
	v_add_f64 v[6:7], |v[6:7]|, |v[8:9]|
	s_branch .LBB4_47
.LBB4_46:                               ;   in Loop: Header=BB4_47 Depth=3
	s_add_u32 s58, s58, 8
	s_addc_u32 s59, s59, 0
	s_add_u32 s60, s60, 8
	s_addc_u32 s61, s61, 0
	;; [unrolled: 2-line block ×4, first 2 shown]
	s_add_i32 s16, s16, 1
	s_add_u32 s14, s14, 8
	s_addc_u32 s15, s15, 0
	s_cmp_eq_u32 s87, s16
	s_cbranch_scc1 .LBB4_68
.LBB4_47:                               ;   Parent Loop BB4_17 Depth=1
                                        ;     Parent Loop BB4_27 Depth=2
                                        ; =>    This Inner Loop Header: Depth=3
	s_add_i32 s45, s16, -1
	s_add_u32 s64, s20, s14
	s_addc_u32 s65, s21, s15
	global_load_dwordx2 v[8:9], v4, s[64:65]
	s_add_u32 s62, s20, s72
	s_addc_u32 s63, s21, s73
	s_cmp_lt_i32 s45, s85
	s_cselect_b64 s[42:43], -1, 0
	s_cmp_ge_i32 s45, s85
	s_waitcnt vmcnt(0)
	v_add_f64 v[38:39], v[8:9], -v[20:21]
	global_store_dwordx2 v4, v[38:39], s[64:65]
	global_load_dwordx2 v[40:41], v4, s[62:63]
	s_waitcnt vmcnt(0)
	v_add_f64 v[8:9], |v[38:39]|, |v[40:41]|
	s_cbranch_scc1 .LBB4_49
; %bb.48:                               ;   in Loop: Header=BB4_47 Depth=3
	s_add_u32 s90, s20, s58
	s_addc_u32 s91, s21, s59
	global_load_dwordx2 v[36:37], v4, s[90:91] offset:16
	s_waitcnt vmcnt(0)
	v_add_f64 v[8:9], v[8:9], |v[36:37]|
.LBB4_49:                               ;   in Loop: Header=BB4_47 Depth=3
	global_load_dwordx2 v[44:45], v4, s[64:65] offset:-8
	v_pk_mov_b32 v[36:37], 0, 0
	s_waitcnt vmcnt(0)
	v_cmp_eq_f64_e32 vcc, 0, v[44:45]
	s_cbranch_vccnz .LBB4_51
; %bb.50:                               ;   in Loop: Header=BB4_47 Depth=3
	v_and_b32_e32 v37, 0x7fffffff, v45
	v_mov_b32_e32 v36, v44
	v_div_scale_f64 v[42:43], s[90:91], v[6:7], v[6:7], v[36:37]
	v_rcp_f64_e32 v[46:47], v[42:43]
	v_div_scale_f64 v[36:37], vcc, v[36:37], v[6:7], v[36:37]
	v_fma_f64 v[56:57], -v[42:43], v[46:47], 1.0
	v_fmac_f64_e32 v[46:47], v[46:47], v[56:57]
	v_fma_f64 v[56:57], -v[42:43], v[46:47], 1.0
	v_fmac_f64_e32 v[46:47], v[46:47], v[56:57]
	v_mul_f64 v[56:57], v[36:37], v[46:47]
	v_fma_f64 v[36:37], -v[42:43], v[56:57], v[36:37]
	v_div_fmas_f64 v[36:37], v[36:37], v[46:47], v[56:57]
	v_div_fixup_f64 v[36:37], v[36:37], v[6:7], |v[44:45]|
.LBB4_51:                               ;   in Loop: Header=BB4_47 Depth=3
	v_cmp_neq_f64_e32 vcc, 0, v[40:41]
	s_cbranch_vccz .LBB4_56
; %bb.52:                               ;   in Loop: Header=BB4_47 Depth=3
	v_and_b32_e32 v43, 0x7fffffff, v41
	v_mov_b32_e32 v42, v40
	v_div_scale_f64 v[46:47], s[90:91], v[8:9], v[8:9], v[42:43]
	v_rcp_f64_e32 v[56:57], v[46:47]
	v_div_scale_f64 v[42:43], vcc, v[42:43], v[8:9], v[42:43]
	v_fma_f64 v[58:59], -v[46:47], v[56:57], 1.0
	v_fmac_f64_e32 v[56:57], v[56:57], v[58:59]
	v_fma_f64 v[58:59], -v[46:47], v[56:57], 1.0
	v_fmac_f64_e32 v[56:57], v[56:57], v[58:59]
	v_mul_f64 v[58:59], v[42:43], v[56:57]
	v_fma_f64 v[42:43], -v[46:47], v[58:59], v[42:43]
	v_div_fmas_f64 v[42:43], v[42:43], v[56:57], v[58:59]
	v_div_fixup_f64 v[42:43], v[42:43], v[8:9], |v[40:41]|
	v_cmp_nle_f64_e32 vcc, v[42:43], v[36:37]
	s_cbranch_vccnz .LBB4_57
; %bb.53:                               ;   in Loop: Header=BB4_47 Depth=3
	v_div_scale_f64 v[46:47], s[90:91], v[44:45], v[44:45], v[40:41]
	v_rcp_f64_e32 v[56:57], v[46:47]
	v_div_scale_f64 v[58:59], vcc, v[40:41], v[44:45], v[40:41]
	s_add_u32 s90, s20, s58
	v_fma_f64 v[60:61], -v[46:47], v[56:57], 1.0
	v_fmac_f64_e32 v[56:57], v[56:57], v[60:61]
	v_fma_f64 v[60:61], -v[46:47], v[56:57], 1.0
	v_fmac_f64_e32 v[56:57], v[56:57], v[60:61]
	v_mul_f64 v[60:61], v[58:59], v[56:57]
	v_fma_f64 v[46:47], -v[46:47], v[60:61], v[58:59]
	v_div_fmas_f64 v[46:47], v[46:47], v[56:57], v[60:61]
	v_div_fixup_f64 v[46:47], v[46:47], v[44:45], v[40:41]
	global_store_dwordx2 v4, v[46:47], s[62:63]
	s_addc_u32 s91, s21, s59
	global_load_dwordx2 v[56:57], v4, s[64:65]
	global_load_dwordx2 v[58:59], v4, s[90:91] offset:8
	s_andn2_b64 vcc, exec, s[42:43]
	global_store_dword v4, v4, s[22:23]
	s_waitcnt vmcnt(1)
	v_fma_f64 v[46:47], -v[46:47], v[58:59], v[56:57]
	global_store_dwordx2 v4, v[46:47], s[64:65]
	s_cbranch_vccnz .LBB4_55
; %bb.54:                               ;   in Loop: Header=BB4_47 Depth=3
	s_add_u32 s90, s20, s60
	s_addc_u32 s91, s21, s61
	v_mov_b32_e32 v5, v4
	global_store_dwordx2 v4, v[4:5], s[90:91]
.LBB4_55:                               ;   in Loop: Header=BB4_47 Depth=3
	v_pk_mov_b32 v[46:47], v[8:9], v[8:9] op_sel:[0,1]
	s_cbranch_execz .LBB4_58
	s_branch .LBB4_61
.LBB4_56:                               ;   in Loop: Header=BB4_47 Depth=3
                                        ; implicit-def: $vgpr42_vgpr43
                                        ; implicit-def: $vgpr6_vgpr7
	s_branch .LBB4_62
.LBB4_57:                               ;   in Loop: Header=BB4_47 Depth=3
	v_pk_mov_b32 v[46:47], v[8:9], v[8:9] op_sel:[0,1]
.LBB4_58:                               ;   in Loop: Header=BB4_47 Depth=3
	s_add_u32 s90, s20, s58
	global_store_dwordx2 v4, v[40:41], s[64:65] offset:-8
	s_addc_u32 s91, s21, s59
	global_load_dwordx2 v[46:47], v4, s[90:91] offset:8
	v_div_scale_f64 v[56:57], vcc, v[40:41], v[40:41], v[44:45]
	v_rcp_f64_e32 v[58:59], v[56:57]
	v_div_scale_f64 v[60:61], vcc, v[44:45], v[40:41], v[44:45]
	global_store_dword v4, v52, s[22:23]
	v_fma_f64 v[62:63], -v[56:57], v[58:59], 1.0
	v_fmac_f64_e32 v[58:59], v[58:59], v[62:63]
	v_fma_f64 v[62:63], -v[56:57], v[58:59], 1.0
	v_fmac_f64_e32 v[58:59], v[58:59], v[62:63]
	v_mul_f64 v[62:63], v[60:61], v[58:59]
	v_fma_f64 v[56:57], -v[56:57], v[62:63], v[60:61]
	v_div_fmas_f64 v[56:57], v[56:57], v[58:59], v[62:63]
	v_div_fixup_f64 v[40:41], v[56:57], v[40:41], v[44:45]
	s_andn2_b64 vcc, exec, s[42:43]
	s_waitcnt vmcnt(1)
	v_fma_f64 v[44:45], -v[38:39], v[40:41], v[46:47]
	global_store_dwordx2 v4, v[44:45], s[64:65]
	s_cbranch_vccnz .LBB4_60
; %bb.59:                               ;   in Loop: Header=BB4_47 Depth=3
	global_load_dwordx2 v[44:45], v4, s[90:91] offset:16
	s_add_u32 s64, s20, s60
	s_addc_u32 s65, s21, s61
	s_waitcnt vmcnt(0)
	global_store_dwordx2 v4, v[44:45], s[64:65]
	v_mul_f64 v[44:45], v[44:45], -v[40:41]
	global_store_dwordx2 v4, v[44:45], s[90:91] offset:16
.LBB4_60:                               ;   in Loop: Header=BB4_47 Depth=3
	v_pk_mov_b32 v[46:47], v[6:7], v[6:7] op_sel:[0,1]
	global_store_dwordx2 v4, v[38:39], s[90:91] offset:8
	global_store_dwordx2 v4, v[40:41], s[62:63]
.LBB4_61:                               ;   in Loop: Header=BB4_47 Depth=3
	v_pk_mov_b32 v[6:7], v[46:47], v[46:47] op_sel:[0,1]
	s_cbranch_execnz .LBB4_65
.LBB4_62:                               ;   in Loop: Header=BB4_47 Depth=3
	s_andn2_b64 vcc, exec, s[42:43]
	global_store_dword v4, v4, s[22:23]
	s_cbranch_vccnz .LBB4_64
; %bb.63:                               ;   in Loop: Header=BB4_47 Depth=3
	s_add_u32 s42, s20, s60
	s_addc_u32 s43, s21, s61
	v_mov_b32_e32 v5, v4
	global_store_dwordx2 v4, v[4:5], s[42:43]
.LBB4_64:                               ;   in Loop: Header=BB4_47 Depth=3
	v_pk_mov_b32 v[42:43], 0, 0
	v_pk_mov_b32 v[6:7], v[8:9], v[8:9] op_sel:[0,1]
.LBB4_65:                               ;   in Loop: Header=BB4_47 Depth=3
	v_max_f64 v[8:9], v[42:43], v[42:43]
	v_max_f64 v[36:37], v[36:37], v[36:37]
	v_max_f64 v[8:9], v[36:37], v[8:9]
	v_cmp_nle_f64_e32 vcc, v[8:9], v[16:17]
	s_cbranch_vccnz .LBB4_46
; %bb.66:                               ;   in Loop: Header=BB4_47 Depth=3
	global_load_dword v5, v4, s[94:95]
	s_waitcnt vmcnt(0)
	v_cmp_ne_u32_e32 vcc, 0, v5
	s_cbranch_vccnz .LBB4_46
; %bb.67:                               ;   in Loop: Header=BB4_47 Depth=3
	v_mov_b32_e32 v5, s16
	global_store_dword v4, v5, s[94:95]
	s_branch .LBB4_46
.LBB4_68:                               ;   in Loop: Header=BB4_27 Depth=2
	v_readlane_b32 s14, v64, 44
	v_readlane_b32 s15, v64, 45
	v_mul_f64 v[6:7], v[16:17], v[6:7]
	s_nop 3
	global_load_dwordx2 v[8:9], v4, s[14:15]
	s_waitcnt vmcnt(0)
	v_cmp_le_f64_e64 s[14:15], |v[8:9]|, v[6:7]
	s_and_b64 vcc, exec, s[14:15]
	s_cbranch_vccz .LBB4_71
; %bb.69:                               ;   in Loop: Header=BB4_27 Depth=2
	global_load_dword v5, v4, s[94:95]
	s_waitcnt vmcnt(0)
	v_cmp_ne_u32_e32 vcc, 0, v5
	s_cbranch_vccnz .LBB4_71
; %bb.70:                               ;   in Loop: Header=BB4_27 Depth=2
	global_store_dword v4, v55, s[94:95]
.LBB4_71:                               ;   in Loop: Header=BB4_27 Depth=2
	s_or_b64 exec, exec, s[12:13]
	v_add_f64 v[2:3], v[20:21], -v[2:3]
	v_cmp_gt_f64_e64 s[72:73], |v[2:3]|, v[24:25]
	s_mov_b32 s45, 0
	s_mov_b32 s60, 0
	v_bfrev_b32_e32 v5, -2
	v_pk_mov_b32 v[2:3], 0, 0
	s_and_saveexec_b64 s[22:23], s[8:9]
	s_cbranch_execz .LBB4_75
.LBB4_72:                               ;   in Loop: Header=BB4_27 Depth=2
	s_mov_b64 s[42:43], 0
	v_bfrev_b32_e32 v5, -2
	v_pk_mov_b32 v[2:3], 0, 0
	v_pk_mov_b32 v[6:7], v[10:11], v[10:11] op_sel:[0,1]
	v_mov_b32_e32 v8, v0
.LBB4_73:                               ;   Parent Loop BB4_17 Depth=1
                                        ;     Parent Loop BB4_27 Depth=2
                                        ; =>    This Inner Loop Header: Depth=3
	global_load_dwordx2 v[36:37], v[6:7], off
	v_add_co_u32_e32 v6, vcc, 0x800, v6
	v_cmp_eq_u32_e64 s[12:13], s51, v5
	v_add_u32_e32 v9, 1, v8
	v_add_u32_e32 v8, 0x100, v8
	v_addc_co_u32_e32 v7, vcc, 0, v7, vcc
	v_cmp_lt_i32_e64 s[14:15], s86, v8
	s_waitcnt vmcnt(0)
	v_cmp_lt_f64_e64 s[58:59], v[2:3], |v[36:37]|
	v_and_b32_e32 v38, 0x7fffffff, v37
	s_or_b64 vcc, s[58:59], s[12:13]
	v_cndmask_b32_e32 v3, v3, v38, vcc
	v_cndmask_b32_e32 v2, v2, v36, vcc
	s_or_b64 s[42:43], s[14:15], s[42:43]
	v_cndmask_b32_e32 v5, v5, v9, vcc
	s_andn2_b64 exec, exec, s[42:43]
	s_cbranch_execnz .LBB4_73
; %bb.74:                               ;   in Loop: Header=BB4_27 Depth=2
	s_or_b64 exec, exec, s[42:43]
.LBB4_75:                               ;   Parent Loop BB4_17 Depth=1
                                        ;     Parent Loop BB4_27 Depth=2
                                        ; =>    This Loop Header: Depth=3
                                        ;         Child Loop BB4_110 Depth 4
                                        ;         Child Loop BB4_113 Depth 4
	;; [unrolled: 1-line block ×4, first 2 shown]
                                        ;           Child Loop BB4_130 Depth 5
                                        ;         Child Loop BB4_142 Depth 4
                                        ;           Child Loop BB4_143 Depth 5
                                        ;           Child Loop BB4_145 Depth 5
                                        ;         Child Loop BB4_150 Depth 4
	s_or_b64 exec, exec, s[22:23]
	ds_write_b64 v49, v[2:3]
	ds_write_b32 v50, v5 offset:4096
	s_waitcnt lgkmcnt(0)
	s_barrier
	s_and_saveexec_b64 s[14:15], s[2:3]
	s_cbranch_execz .LBB4_81
; %bb.76:                               ;   in Loop: Header=BB4_75 Depth=3
	v_add_u32_e32 v6, v50, v1
	ds_read_b64 v[6:7], v6 offset:1024
	ds_read_b32 v8, v48 offset:512
	s_waitcnt lgkmcnt(1)
	v_cmp_lt_f64_e64 s[22:23], v[2:3], v[6:7]
	v_cmp_nlt_f64_e32 vcc, v[2:3], v[6:7]
	s_and_saveexec_b64 s[42:43], vcc
	s_cbranch_execz .LBB4_78
; %bb.77:                               ;   in Loop: Header=BB4_75 Depth=3
	v_cmp_eq_f64_e32 vcc, v[2:3], v[6:7]
	s_waitcnt lgkmcnt(0)
	v_cmp_gt_i32_e64 s[12:13], v5, v8
	s_and_b64 s[12:13], vcc, s[12:13]
	s_andn2_b64 s[22:23], s[22:23], exec
	s_and_b64 s[12:13], s[12:13], exec
	s_or_b64 s[22:23], s[22:23], s[12:13]
.LBB4_78:                               ;   in Loop: Header=BB4_75 Depth=3
	s_or_b64 exec, exec, s[42:43]
	s_and_saveexec_b64 s[12:13], s[22:23]
	s_cbranch_execz .LBB4_80
; %bb.79:                               ;   in Loop: Header=BB4_75 Depth=3
	s_waitcnt lgkmcnt(0)
	v_mov_b32_e32 v5, v8
	v_pk_mov_b32 v[2:3], v[6:7], v[6:7] op_sel:[0,1]
	ds_write_b64 v49, v[6:7]
	ds_write_b32 v50, v8 offset:4096
.LBB4_80:                               ;   in Loop: Header=BB4_75 Depth=3
	s_or_b64 exec, exec, s[12:13]
.LBB4_81:                               ;   in Loop: Header=BB4_75 Depth=3
	s_or_b64 exec, exec, s[14:15]
	s_waitcnt lgkmcnt(0)
	s_barrier
	s_and_saveexec_b64 s[22:23], s[4:5]
	s_cbranch_execz .LBB4_108
; %bb.82:                               ;   in Loop: Header=BB4_75 Depth=3
	v_add_u32_e32 v8, v50, v1
	ds_read_b64 v[6:7], v8 offset:512
	ds_read_b32 v9, v48 offset:256
	s_waitcnt lgkmcnt(1)
	v_cmp_lt_f64_e64 s[14:15], v[2:3], v[6:7]
	v_cmp_nlt_f64_e32 vcc, v[2:3], v[6:7]
	s_and_saveexec_b64 s[42:43], vcc
	s_cbranch_execz .LBB4_84
; %bb.83:                               ;   in Loop: Header=BB4_75 Depth=3
	v_cmp_eq_f64_e32 vcc, v[2:3], v[6:7]
	s_waitcnt lgkmcnt(0)
	v_cmp_gt_i32_e64 s[12:13], v5, v9
	s_and_b64 s[12:13], vcc, s[12:13]
	s_andn2_b64 s[14:15], s[14:15], exec
	s_and_b64 s[12:13], s[12:13], exec
	s_or_b64 s[14:15], s[14:15], s[12:13]
.LBB4_84:                               ;   in Loop: Header=BB4_75 Depth=3
	s_or_b64 exec, exec, s[42:43]
	s_and_saveexec_b64 s[12:13], s[14:15]
	s_cbranch_execz .LBB4_86
; %bb.85:                               ;   in Loop: Header=BB4_75 Depth=3
	v_pk_mov_b32 v[2:3], v[6:7], v[6:7] op_sel:[0,1]
	s_waitcnt lgkmcnt(0)
	v_mov_b32_e32 v5, v9
	ds_write_b64 v49, v[6:7]
	ds_write_b32 v50, v9 offset:4096
.LBB4_86:                               ;   in Loop: Header=BB4_75 Depth=3
	s_or_b64 exec, exec, s[12:13]
	ds_read_b64 v[6:7], v8 offset:256
	s_waitcnt lgkmcnt(1)
	ds_read_b32 v9, v48 offset:128
	s_waitcnt lgkmcnt(1)
	v_cmp_lt_f64_e64 s[14:15], v[2:3], v[6:7]
	v_cmp_nlt_f64_e32 vcc, v[2:3], v[6:7]
	s_and_saveexec_b64 s[42:43], vcc
	s_cbranch_execz .LBB4_88
; %bb.87:                               ;   in Loop: Header=BB4_75 Depth=3
	v_cmp_eq_f64_e32 vcc, v[2:3], v[6:7]
	s_waitcnt lgkmcnt(0)
	v_cmp_gt_i32_e64 s[12:13], v5, v9
	s_and_b64 s[12:13], vcc, s[12:13]
	s_andn2_b64 s[14:15], s[14:15], exec
	s_and_b64 s[12:13], s[12:13], exec
	s_or_b64 s[14:15], s[14:15], s[12:13]
.LBB4_88:                               ;   in Loop: Header=BB4_75 Depth=3
	s_or_b64 exec, exec, s[42:43]
	s_and_saveexec_b64 s[12:13], s[14:15]
	s_cbranch_execz .LBB4_90
; %bb.89:                               ;   in Loop: Header=BB4_75 Depth=3
	v_pk_mov_b32 v[2:3], v[6:7], v[6:7] op_sel:[0,1]
	s_waitcnt lgkmcnt(0)
	v_mov_b32_e32 v5, v9
	ds_write_b64 v49, v[6:7]
	ds_write_b32 v50, v9 offset:4096
.LBB4_90:                               ;   in Loop: Header=BB4_75 Depth=3
	s_or_b64 exec, exec, s[12:13]
	ds_read_b64 v[6:7], v8 offset:128
	s_waitcnt lgkmcnt(1)
	;; [unrolled: 28-line block ×4, first 2 shown]
	ds_read_b32 v9, v48 offset:16
	s_waitcnt lgkmcnt(1)
	v_cmp_lt_f64_e64 s[14:15], v[2:3], v[6:7]
	v_cmp_nlt_f64_e32 vcc, v[2:3], v[6:7]
	s_and_saveexec_b64 s[42:43], vcc
	s_cbranch_execz .LBB4_100
; %bb.99:                               ;   in Loop: Header=BB4_75 Depth=3
	v_cmp_eq_f64_e32 vcc, v[2:3], v[6:7]
	s_waitcnt lgkmcnt(0)
	v_cmp_gt_i32_e64 s[12:13], v5, v9
	s_and_b64 s[12:13], vcc, s[12:13]
	s_andn2_b64 s[14:15], s[14:15], exec
	s_and_b64 s[12:13], s[12:13], exec
	s_or_b64 s[14:15], s[14:15], s[12:13]
.LBB4_100:                              ;   in Loop: Header=BB4_75 Depth=3
	s_or_b64 exec, exec, s[42:43]
	s_and_saveexec_b64 s[12:13], s[14:15]
	s_cbranch_execz .LBB4_102
; %bb.101:                              ;   in Loop: Header=BB4_75 Depth=3
	v_pk_mov_b32 v[2:3], v[6:7], v[6:7] op_sel:[0,1]
	s_waitcnt lgkmcnt(0)
	v_mov_b32_e32 v5, v9
	ds_write_b64 v49, v[6:7]
	ds_write_b32 v50, v9 offset:4096
.LBB4_102:                              ;   in Loop: Header=BB4_75 Depth=3
	s_or_b64 exec, exec, s[12:13]
	ds_read_b64 v[6:7], v8 offset:16
	s_waitcnt lgkmcnt(1)
	ds_read_b32 v9, v48 offset:8
	s_waitcnt lgkmcnt(1)
	v_cmp_lt_f64_e64 s[14:15], v[2:3], v[6:7]
	v_cmp_nlt_f64_e32 vcc, v[2:3], v[6:7]
	s_and_saveexec_b64 s[42:43], vcc
	s_cbranch_execz .LBB4_104
; %bb.103:                              ;   in Loop: Header=BB4_75 Depth=3
	v_cmp_eq_f64_e32 vcc, v[2:3], v[6:7]
	s_waitcnt lgkmcnt(0)
	v_cmp_gt_i32_e64 s[12:13], v5, v9
	s_and_b64 s[12:13], vcc, s[12:13]
	s_andn2_b64 s[14:15], s[14:15], exec
	s_and_b64 s[12:13], s[12:13], exec
	s_or_b64 s[14:15], s[14:15], s[12:13]
.LBB4_104:                              ;   in Loop: Header=BB4_75 Depth=3
	s_or_b64 exec, exec, s[42:43]
	s_and_saveexec_b64 s[12:13], s[14:15]
	s_cbranch_execz .LBB4_106
; %bb.105:                              ;   in Loop: Header=BB4_75 Depth=3
	v_pk_mov_b32 v[2:3], v[6:7], v[6:7] op_sel:[0,1]
	s_waitcnt lgkmcnt(0)
	v_mov_b32_e32 v5, v9
	ds_write_b64 v49, v[6:7]
	ds_write_b32 v50, v9 offset:4096
.LBB4_106:                              ;   in Loop: Header=BB4_75 Depth=3
	s_or_b64 exec, exec, s[12:13]
	ds_read_b64 v[6:7], v8 offset:8
	ds_read_b32 v8, v48 offset:4
	s_waitcnt lgkmcnt(1)
	v_cmp_eq_f64_e64 s[12:13], v[2:3], v[6:7]
	s_waitcnt lgkmcnt(0)
	v_cmp_gt_i32_e64 s[14:15], v5, v8
	v_cmp_lt_f64_e32 vcc, v[2:3], v[6:7]
	s_and_b64 s[12:13], s[12:13], s[14:15]
	s_or_b64 s[12:13], vcc, s[12:13]
	s_and_b64 exec, exec, s[12:13]
	s_cbranch_execz .LBB4_108
; %bb.107:                              ;   in Loop: Header=BB4_75 Depth=3
	ds_write_b64 v49, v[6:7]
	ds_write_b32 v50, v8 offset:4096
.LBB4_108:                              ;   in Loop: Header=BB4_75 Depth=3
	s_or_b64 exec, exec, s[22:23]
	s_waitcnt lgkmcnt(0)
	s_barrier
	s_and_saveexec_b64 s[12:13], s[8:9]
	s_cbranch_execz .LBB4_111
; %bb.109:                              ;   in Loop: Header=BB4_75 Depth=3
	global_load_dwordx2 v[2:3], v4, s[92:93]
	ds_read_b64 v[6:7], v54
	v_mov_b32_e32 v5, s25
	v_mov_b32_e32 v8, s24
	s_mov_b64 s[14:15], 0
	s_waitcnt vmcnt(0)
	v_and_b32_e32 v9, 0x7fffffff, v3
	v_cmp_gt_f64_e64 vcc, |v[2:3]|, s[24:25]
	v_cndmask_b32_e32 v3, v5, v9, vcc
	v_cndmask_b32_e32 v2, v8, v2, vcc
	v_mul_f64 v[8:9], v[28:29], v[2:3]
	s_waitcnt lgkmcnt(0)
	v_div_scale_f64 v[36:37], s[22:23], v[6:7], v[6:7], v[8:9]
	v_rcp_f64_e32 v[38:39], v[36:37]
	v_div_scale_f64 v[40:41], vcc, v[8:9], v[6:7], v[8:9]
	v_pk_mov_b32 v[2:3], v[10:11], v[10:11] op_sel:[0,1]
	v_fma_f64 v[42:43], -v[36:37], v[38:39], 1.0
	v_fmac_f64_e32 v[38:39], v[38:39], v[42:43]
	v_fma_f64 v[42:43], -v[36:37], v[38:39], 1.0
	v_fmac_f64_e32 v[38:39], v[38:39], v[42:43]
	v_mul_f64 v[42:43], v[40:41], v[38:39]
	v_fma_f64 v[36:37], -v[36:37], v[42:43], v[40:41]
	v_div_fmas_f64 v[36:37], v[36:37], v[38:39], v[42:43]
	v_div_fixup_f64 v[6:7], v[36:37], v[6:7], v[8:9]
	v_mov_b32_e32 v5, v0
.LBB4_110:                              ;   Parent Loop BB4_17 Depth=1
                                        ;     Parent Loop BB4_27 Depth=2
                                        ;       Parent Loop BB4_75 Depth=3
                                        ; =>      This Inner Loop Header: Depth=4
	global_load_dwordx2 v[8:9], v[2:3], off
	v_add_u32_e32 v5, 0x100, v5
	v_cmp_lt_i32_e32 vcc, s86, v5
	s_or_b64 s[14:15], vcc, s[14:15]
	s_waitcnt vmcnt(0)
	v_mul_f64 v[8:9], v[6:7], v[8:9]
	global_store_dwordx2 v[2:3], v[8:9], off
	v_add_co_u32_e32 v2, vcc, 0x800, v2
	v_addc_co_u32_e32 v3, vcc, 0, v3, vcc
	s_andn2_b64 exec, exec, s[14:15]
	s_cbranch_execnz .LBB4_110
.LBB4_111:                              ;   in Loop: Header=BB4_75 Depth=3
	s_or_b64 exec, exec, s[12:13]
	s_barrier
	s_and_saveexec_b64 s[14:15], s[0:1]
	s_cbranch_execz .LBB4_138
; %bb.112:                              ;   in Loop: Header=BB4_75 Depth=3
	global_load_dwordx4 v[6:9], v4, s[40:41]
	global_load_dwordx2 v[2:3], v4, s[54:55]
	s_mov_b64 s[12:13], s[68:69]
	s_mov_b64 s[22:23], s[66:67]
	;; [unrolled: 1-line block ×3, first 2 shown]
	s_andn2_b64 vcc, exec, s[70:71]
	s_mov_b32 s16, s85
	s_waitcnt vmcnt(1)
	v_max_f64 v[8:9], |v[8:9]|, |v[8:9]|
	s_waitcnt vmcnt(0)
	v_max_f64 v[2:3], |v[2:3]|, |v[2:3]|
	v_max_f64 v[6:7], |v[6:7]|, |v[6:7]|
	v_max_f64 v[2:3], v[8:9], v[2:3]
	v_max_f64 v[2:3], v[6:7], v[2:3]
	s_cbranch_vccnz .LBB4_114
.LBB4_113:                              ;   Parent Loop BB4_17 Depth=1
                                        ;     Parent Loop BB4_27 Depth=2
                                        ;       Parent Loop BB4_75 Depth=3
                                        ; =>      This Inner Loop Header: Depth=4
	global_load_dwordx2 v[6:7], v4, s[22:23]
	global_load_dwordx2 v[8:9], v4, s[42:43]
	;; [unrolled: 1-line block ×3, first 2 shown]
	s_add_i32 s16, s16, -1
	s_add_u32 s42, s42, 8
	s_addc_u32 s43, s43, 0
	s_add_u32 s22, s22, 8
	s_addc_u32 s23, s23, 0
	v_max_f64 v[2:3], v[2:3], v[2:3]
	s_add_u32 s12, s12, 8
	s_addc_u32 s13, s13, 0
	s_cmp_lg_u32 s16, 0
	s_waitcnt vmcnt(2)
	v_max_f64 v[6:7], |v[6:7]|, |v[6:7]|
	s_waitcnt vmcnt(1)
	v_max_f64 v[8:9], |v[8:9]|, |v[8:9]|
	;; [unrolled: 2-line block ×3, first 2 shown]
	v_max_f64 v[2:3], v[2:3], v[6:7]
	v_max_f64 v[6:7], v[36:37], v[8:9]
	;; [unrolled: 1-line block ×3, first 2 shown]
	s_cbranch_scc1 .LBB4_113
.LBB4_114:                              ;   in Loop: Header=BB4_75 Depth=3
	s_mov_b32 s16, 1
	s_mov_b64 s[12:13], 0
	s_mov_b32 s61, s86
	s_mov_b64 s[22:23], s[74:75]
	s_branch .LBB4_116
.LBB4_115:                              ;   in Loop: Header=BB4_116 Depth=4
	s_add_u32 s58, s58, s12
	s_addc_u32 s59, s59, s13
	global_load_dwordx2 v[36:37], v4, s[58:59]
	s_add_i32 s16, s16, 1
	s_add_u32 s12, s12, 8
	s_addc_u32 s13, s13, 0
	s_add_u32 s22, s22, 4
	s_addc_u32 s23, s23, 0
	s_add_i32 s61, s61, -1
	s_cmp_lg_u32 s61, 0
	s_waitcnt vmcnt(0)
	v_fma_f64 v[6:7], -v[8:9], v[36:37], v[6:7]
	global_store_dwordx2 v4, v[6:7], s[42:43]
	s_cbranch_scc0 .LBB4_120
.LBB4_116:                              ;   Parent Loop BB4_17 Depth=1
                                        ;     Parent Loop BB4_27 Depth=2
                                        ;       Parent Loop BB4_75 Depth=3
                                        ; =>      This Inner Loop Header: Depth=4
	global_load_dword v5, v4, s[22:23]
	s_waitcnt vmcnt(0)
	v_cmp_ne_u32_e32 vcc, 0, v5
	s_cbranch_vccz .LBB4_118
; %bb.117:                              ;   in Loop: Header=BB4_116 Depth=4
	s_add_u32 s58, s36, s12
	s_addc_u32 s59, s37, s13
	global_load_dwordx4 v[6:9], v4, s[58:59]
	s_lshl_b64 s[42:43], s[16:17], 3
	s_add_u32 s42, s36, s42
	s_addc_u32 s43, s37, s43
	s_waitcnt vmcnt(0)
	global_store_dwordx2 v4, v[8:9], s[58:59]
	s_mov_b64 s[58:59], s[46:47]
	s_cbranch_execnz .LBB4_115
	s_branch .LBB4_119
.LBB4_118:                              ;   in Loop: Header=BB4_116 Depth=4
                                        ; implicit-def: $sgpr42_sgpr43
                                        ; implicit-def: $vgpr6_vgpr7
	s_mov_b64 s[58:59], s[46:47]
.LBB4_119:                              ;   in Loop: Header=BB4_116 Depth=4
	s_add_u32 s58, s36, s12
	s_addc_u32 s59, s37, s13
	s_add_u32 s42, s58, 8
	s_addc_u32 s43, s59, 0
	;; [unrolled: 2-line block ×3, first 2 shown]
	global_load_dwordx2 v[6:7], v4, s[58:59] offset:8
	global_load_dwordx2 v[8:9], v4, s[62:63]
	s_mov_b64 s[58:59], s[36:37]
	s_branch .LBB4_115
.LBB4_120:                              ;   in Loop: Header=BB4_75 Depth=3
	v_mul_f64 v[2:3], v[2:3], s[24:25]
	v_cmp_eq_f64_e32 vcc, 0, v[2:3]
	s_and_b64 s[12:13], vcc, exec
	v_readfirstlane_b32 s16, v3
	v_readfirstlane_b32 s12, v2
	s_cselect_b32 s61, s25, s16
	s_cselect_b32 s62, s24, s12
	s_and_b32 s63, s61, 0x7fffffff
	s_mov_b32 s64, s62
	s_mov_b32 s16, s86
	s_branch .LBB4_123
.LBB4_121:                              ;   in Loop: Header=BB4_123 Depth=4
	v_pk_mov_b32 v[6:7], v[40:41], v[40:41] op_sel:[0,1]
.LBB4_122:                              ;   in Loop: Header=BB4_123 Depth=4
	v_div_scale_f64 v[8:9], s[12:13], v[6:7], v[6:7], v[2:3]
	v_rcp_f64_e32 v[36:37], v[8:9]
	v_div_scale_f64 v[38:39], vcc, v[2:3], v[6:7], v[2:3]
	s_add_i32 s12, s16, -1
	v_fma_f64 v[40:41], -v[8:9], v[36:37], 1.0
	v_fmac_f64_e32 v[36:37], v[36:37], v[40:41]
	v_fma_f64 v[40:41], -v[8:9], v[36:37], 1.0
	v_fmac_f64_e32 v[36:37], v[36:37], v[40:41]
	v_mul_f64 v[40:41], v[38:39], v[36:37]
	v_fma_f64 v[8:9], -v[8:9], v[40:41], v[38:39]
	v_div_fmas_f64 v[8:9], v[8:9], v[36:37], v[40:41]
	v_div_fixup_f64 v[2:3], v[8:9], v[6:7], v[2:3]
	s_cmp_gt_i32 s16, 0
	s_mov_b32 s16, s12
	global_store_dwordx2 v4, v[2:3], s[22:23]
	s_cbranch_scc0 .LBB4_138
.LBB4_123:                              ;   Parent Loop BB4_17 Depth=1
                                        ;     Parent Loop BB4_27 Depth=2
                                        ;       Parent Loop BB4_75 Depth=3
                                        ; =>      This Loop Header: Depth=4
                                        ;           Child Loop BB4_130 Depth 5
	s_lshl_b64 s[12:13], s[16:17], 3
	s_add_u32 s22, s36, s12
	s_addc_u32 s23, s37, s13
	global_load_dwordx2 v[2:3], v4, s[22:23]
	s_cmp_ge_i32 s16, s86
	s_cbranch_scc1 .LBB4_125
; %bb.124:                              ;   in Loop: Header=BB4_123 Depth=4
	s_add_u32 s42, s54, s12
	s_addc_u32 s43, s55, s13
	global_load_dwordx2 v[6:7], v4, s[42:43]
	global_load_dwordx2 v[8:9], v4, s[22:23] offset:8
	s_waitcnt vmcnt(0)
	v_fma_f64 v[2:3], -v[6:7], v[8:9], v[2:3]
.LBB4_125:                              ;   in Loop: Header=BB4_123 Depth=4
	s_cmp_ge_i32 s16, s85
	s_cbranch_scc1 .LBB4_127
; %bb.126:                              ;   in Loop: Header=BB4_123 Depth=4
	s_add_u32 s42, s48, s12
	s_addc_u32 s43, s49, s13
	global_load_dwordx2 v[6:7], v4, s[42:43]
	global_load_dwordx2 v[8:9], v4, s[22:23] offset:16
	s_waitcnt vmcnt(0)
	v_fma_f64 v[2:3], -v[6:7], v[8:9], v[2:3]
.LBB4_127:                              ;   in Loop: Header=BB4_123 Depth=4
	s_add_u32 s12, s40, s12
	s_addc_u32 s13, s41, s13
	global_load_dwordx2 v[6:7], v4, s[12:13]
	s_waitcnt vmcnt(0)
	v_cmp_nlt_f64_e64 s[12:13], |v[6:7]|, 1.0
	s_and_b64 vcc, exec, s[12:13]
	s_cbranch_vccnz .LBB4_122
; %bb.128:                              ;   in Loop: Header=BB4_123 Depth=4
	v_cmp_nle_f64_e32 vcc, 0, v[6:7]
	s_xor_b32 s42, s63, 0x80000000
	s_and_b32 s43, s61, 0x7fffffff
	s_and_b64 s[12:13], vcc, exec
	s_cselect_b32 s13, s42, s43
	s_cselect_b32 s12, s64, s62
	v_and_b32_e32 v39, 0x7fffffff, v7
	v_mov_b32_e32 v38, v6
	v_mul_f64 v[8:9], |v[2:3]|, s[26:27]
	v_pk_mov_b32 v[36:37], s[12:13], s[12:13] op_sel:[0,1]
	s_branch .LBB4_130
.LBB4_129:                              ;   in Loop: Header=BB4_130 Depth=5
	v_add_f64 v[40:41], v[6:7], v[36:37]
	v_add_f64 v[36:37], v[36:37], v[36:37]
	v_and_b32_e32 v39, 0x7fffffff, v41
	v_mov_b32_e32 v38, v40
	v_cmp_nlt_f64_e64 s[42:43], |v[40:41]|, 1.0
	s_mov_b64 s[12:13], -1
	v_pk_mov_b32 v[42:43], v[6:7], v[6:7] op_sel:[0,1]
	s_andn2_b64 vcc, exec, s[42:43]
	v_pk_mov_b32 v[6:7], v[40:41], v[40:41] op_sel:[0,1]
	s_cbranch_vccz .LBB4_136
.LBB4_130:                              ;   Parent Loop BB4_17 Depth=1
                                        ;     Parent Loop BB4_27 Depth=2
                                        ;       Parent Loop BB4_75 Depth=3
                                        ;         Parent Loop BB4_123 Depth=4
                                        ; =>        This Inner Loop Header: Depth=5
	v_cmp_ngt_f64_e32 vcc, s[26:27], v[38:39]
	s_cbranch_vccz .LBB4_132
; %bb.131:                              ;   in Loop: Header=BB4_130 Depth=5
	v_mul_f64 v[40:41], v[18:19], v[38:39]
	v_cmp_gt_f64_e64 s[42:43], |v[2:3]|, v[40:41]
	s_mov_b64 s[12:13], -1
	v_pk_mov_b32 v[40:41], v[6:7], v[6:7] op_sel:[0,1]
	v_pk_mov_b32 v[42:43], v[6:7], v[6:7] op_sel:[0,1]
	s_cbranch_execz .LBB4_133
	s_branch .LBB4_134
.LBB4_132:                              ;   in Loop: Header=BB4_130 Depth=5
	s_mov_b64 s[42:43], 0
                                        ; implicit-def: $sgpr12_sgpr13
	v_pk_mov_b32 v[40:41], v[6:7], v[6:7] op_sel:[0,1]
	v_pk_mov_b32 v[42:43], v[6:7], v[6:7] op_sel:[0,1]
.LBB4_133:                              ;   in Loop: Header=BB4_130 Depth=5
	v_cmp_eq_f64_e32 vcc, 0, v[6:7]
	v_cmp_gt_f64_e64 s[12:13], v[8:9], v[38:39]
	s_or_b64 s[42:43], vcc, s[12:13]
	s_mov_b64 s[12:13], 0
	v_pk_mov_b32 v[42:43], v[6:7], v[6:7] op_sel:[0,1]
                                        ; implicit-def: $vgpr40_vgpr41
.LBB4_134:                              ;   in Loop: Header=BB4_130 Depth=5
	s_andn2_b64 vcc, exec, s[42:43]
	s_cbranch_vccz .LBB4_129
; %bb.135:                              ;   in Loop: Header=BB4_123 Depth=4
                                        ; implicit-def: $vgpr36_vgpr37
                                        ; implicit-def: $vgpr38_vgpr39
	v_pk_mov_b32 v[6:7], v[40:41], v[40:41] op_sel:[0,1]
.LBB4_136:                              ;   in Loop: Header=BB4_123 Depth=4
	s_andn2_b64 vcc, exec, s[12:13]
	s_cbranch_vccz .LBB4_121
; %bb.137:                              ;   in Loop: Header=BB4_123 Depth=4
	v_mul_f64 v[2:3], v[18:19], v[2:3]
	v_mul_f64 v[40:41], v[18:19], v[42:43]
	s_branch .LBB4_121
.LBB4_138:                              ;   in Loop: Header=BB4_75 Depth=3
	s_or_b64 exec, exec, s[14:15]
	s_andn2_b64 vcc, exec, s[38:39]
	s_barrier
	s_cbranch_vccnz .LBB4_148
; %bb.139:                              ;   in Loop: Header=BB4_75 Depth=3
	s_and_b64 s[12:13], s[72:73], exec
	s_cselect_b32 s16, s44, s7
	s_cmp_eq_u32 s16, s44
	s_mov_b32 s7, s44
	s_cbranch_scc1 .LBB4_148
; %bb.140:                              ;   in Loop: Header=BB4_75 Depth=3
	s_cmp_lt_i32 s16, s44
	s_cselect_b64 s[12:13], -1, 0
	s_and_b64 s[14:15], s[0:1], s[12:13]
	s_and_saveexec_b64 s[12:13], s[14:15]
	s_cbranch_execz .LBB4_147
; %bb.141:                              ;   in Loop: Header=BB4_75 Depth=3
	s_mul_i32 s7, s53, s16
	s_add_i32 s7, s82, s7
	s_mov_b32 s42, s16
.LBB4_142:                              ;   Parent Loop BB4_17 Depth=1
                                        ;     Parent Loop BB4_27 Depth=2
                                        ;       Parent Loop BB4_75 Depth=3
                                        ; =>      This Loop Header: Depth=4
                                        ;           Child Loop BB4_143 Depth 5
                                        ;           Child Loop BB4_145 Depth 5
	v_pk_mov_b32 v[2:3], 0, 0
	s_mov_b64 s[14:15], s[36:37]
	s_mov_b32 s22, s7
	s_mov_b32 s43, s87
.LBB4_143:                              ;   Parent Loop BB4_17 Depth=1
                                        ;     Parent Loop BB4_27 Depth=2
                                        ;       Parent Loop BB4_75 Depth=3
                                        ;         Parent Loop BB4_142 Depth=4
                                        ; =>        This Inner Loop Header: Depth=5
	s_ashr_i32 s23, s22, 31
	s_lshl_b64 s[58:59], s[22:23], 4
	s_add_u32 s58, s52, s58
	s_addc_u32 s59, s56, s59
	global_load_dwordx2 v[6:7], v4, s[14:15]
	global_load_dwordx2 v[8:9], v4, s[58:59]
	s_add_i32 s43, s43, -1
	s_add_i32 s22, s22, 1
	s_add_u32 s14, s14, 8
	s_addc_u32 s15, s15, 0
	s_cmp_lg_u32 s43, 0
	s_waitcnt vmcnt(0)
	v_fmac_f64_e32 v[2:3], v[6:7], v[8:9]
	s_cbranch_scc1 .LBB4_143
; %bb.144:                              ;   in Loop: Header=BB4_142 Depth=4
	s_mov_b32 s22, 0
	s_mov_b64 s[14:15], s[36:37]
.LBB4_145:                              ;   Parent Loop BB4_17 Depth=1
                                        ;     Parent Loop BB4_27 Depth=2
                                        ;       Parent Loop BB4_75 Depth=3
                                        ;         Parent Loop BB4_142 Depth=4
                                        ; =>        This Inner Loop Header: Depth=5
	s_add_i32 s58, s7, s22
	s_ashr_i32 s59, s58, 31
	s_lshl_b64 s[58:59], s[58:59], 4
	s_add_u32 s58, s52, s58
	s_addc_u32 s59, s56, s59
	global_load_dwordx2 v[6:7], v4, s[14:15]
	global_load_dwordx2 v[8:9], v4, s[58:59]
	s_add_i32 s22, s22, 1
	s_waitcnt vmcnt(0)
	v_fma_f64 v[6:7], -v[2:3], v[8:9], v[6:7]
	global_store_dwordx2 v4, v[6:7], s[14:15]
	s_add_u32 s14, s14, 8
	s_addc_u32 s15, s15, 0
	s_cmp_lg_u32 s87, s22
	s_cbranch_scc1 .LBB4_145
; %bb.146:                              ;   in Loop: Header=BB4_142 Depth=4
	s_add_i32 s42, s42, 1
	s_add_i32 s7, s7, s53
	s_cmp_lt_i32 s42, s44
	s_cbranch_scc1 .LBB4_142
.LBB4_147:                              ;   in Loop: Header=BB4_75 Depth=3
	s_or_b64 exec, exec, s[12:13]
	s_mov_b32 s7, s16
	s_barrier
.LBB4_148:                              ;   in Loop: Header=BB4_75 Depth=3
	v_bfrev_b32_e32 v5, -2
	v_pk_mov_b32 v[2:3], 0, 0
	s_and_saveexec_b64 s[22:23], s[8:9]
	s_cbranch_execz .LBB4_152
; %bb.149:                              ;   in Loop: Header=BB4_75 Depth=3
	s_mov_b64 s[42:43], 0
	v_bfrev_b32_e32 v5, -2
	v_pk_mov_b32 v[2:3], 0, 0
	v_pk_mov_b32 v[6:7], v[10:11], v[10:11] op_sel:[0,1]
	v_mov_b32_e32 v8, v0
.LBB4_150:                              ;   Parent Loop BB4_17 Depth=1
                                        ;     Parent Loop BB4_27 Depth=2
                                        ;       Parent Loop BB4_75 Depth=3
                                        ; =>      This Inner Loop Header: Depth=4
	global_load_dwordx2 v[36:37], v[6:7], off
	v_add_co_u32_e32 v6, vcc, 0x800, v6
	v_cmp_eq_u32_e64 s[12:13], s51, v5
	v_add_u32_e32 v9, 1, v8
	v_add_u32_e32 v8, 0x100, v8
	v_addc_co_u32_e32 v7, vcc, 0, v7, vcc
	v_cmp_lt_i32_e64 s[14:15], s86, v8
	s_waitcnt vmcnt(0)
	v_cmp_lt_f64_e64 s[58:59], v[2:3], |v[36:37]|
	v_and_b32_e32 v38, 0x7fffffff, v37
	s_or_b64 vcc, s[58:59], s[12:13]
	v_cndmask_b32_e32 v3, v3, v38, vcc
	v_cndmask_b32_e32 v2, v2, v36, vcc
	s_or_b64 s[42:43], s[14:15], s[42:43]
	v_cndmask_b32_e32 v5, v5, v9, vcc
	s_andn2_b64 exec, exec, s[42:43]
	s_cbranch_execnz .LBB4_150
; %bb.151:                              ;   in Loop: Header=BB4_75 Depth=3
	s_or_b64 exec, exec, s[42:43]
.LBB4_152:                              ;   in Loop: Header=BB4_75 Depth=3
	s_or_b64 exec, exec, s[22:23]
	ds_write_b64 v49, v[2:3]
	ds_write_b32 v50, v5 offset:4096
	s_waitcnt lgkmcnt(0)
	s_barrier
	s_and_saveexec_b64 s[14:15], s[2:3]
	s_cbranch_execz .LBB4_158
; %bb.153:                              ;   in Loop: Header=BB4_75 Depth=3
	v_add_u32_e32 v6, v50, v1
	ds_read_b64 v[6:7], v6 offset:1024
	ds_read_b32 v8, v48 offset:512
	s_waitcnt lgkmcnt(1)
	v_cmp_lt_f64_e64 s[22:23], v[2:3], v[6:7]
	v_cmp_nlt_f64_e32 vcc, v[2:3], v[6:7]
	s_and_saveexec_b64 s[42:43], vcc
	s_cbranch_execz .LBB4_155
; %bb.154:                              ;   in Loop: Header=BB4_75 Depth=3
	v_cmp_eq_f64_e32 vcc, v[2:3], v[6:7]
	s_waitcnt lgkmcnt(0)
	v_cmp_gt_i32_e64 s[12:13], v5, v8
	s_and_b64 s[12:13], vcc, s[12:13]
	s_andn2_b64 s[22:23], s[22:23], exec
	s_and_b64 s[12:13], s[12:13], exec
	s_or_b64 s[22:23], s[22:23], s[12:13]
.LBB4_155:                              ;   in Loop: Header=BB4_75 Depth=3
	s_or_b64 exec, exec, s[42:43]
	s_and_saveexec_b64 s[12:13], s[22:23]
	s_cbranch_execz .LBB4_157
; %bb.156:                              ;   in Loop: Header=BB4_75 Depth=3
	s_waitcnt lgkmcnt(0)
	v_mov_b32_e32 v5, v8
	v_pk_mov_b32 v[2:3], v[6:7], v[6:7] op_sel:[0,1]
	ds_write_b64 v49, v[6:7]
	ds_write_b32 v50, v8 offset:4096
.LBB4_157:                              ;   in Loop: Header=BB4_75 Depth=3
	s_or_b64 exec, exec, s[12:13]
.LBB4_158:                              ;   in Loop: Header=BB4_75 Depth=3
	s_or_b64 exec, exec, s[14:15]
	s_waitcnt lgkmcnt(0)
	s_barrier
	s_and_saveexec_b64 s[22:23], s[4:5]
	s_cbranch_execz .LBB4_185
; %bb.159:                              ;   in Loop: Header=BB4_75 Depth=3
	v_add_u32_e32 v8, v50, v1
	ds_read_b64 v[6:7], v8 offset:512
	ds_read_b32 v9, v48 offset:256
	s_waitcnt lgkmcnt(1)
	v_cmp_lt_f64_e64 s[14:15], v[2:3], v[6:7]
	v_cmp_nlt_f64_e32 vcc, v[2:3], v[6:7]
	s_and_saveexec_b64 s[42:43], vcc
	s_cbranch_execz .LBB4_161
; %bb.160:                              ;   in Loop: Header=BB4_75 Depth=3
	v_cmp_eq_f64_e32 vcc, v[2:3], v[6:7]
	s_waitcnt lgkmcnt(0)
	v_cmp_gt_i32_e64 s[12:13], v5, v9
	s_and_b64 s[12:13], vcc, s[12:13]
	s_andn2_b64 s[14:15], s[14:15], exec
	s_and_b64 s[12:13], s[12:13], exec
	s_or_b64 s[14:15], s[14:15], s[12:13]
.LBB4_161:                              ;   in Loop: Header=BB4_75 Depth=3
	s_or_b64 exec, exec, s[42:43]
	s_and_saveexec_b64 s[12:13], s[14:15]
	s_cbranch_execz .LBB4_163
; %bb.162:                              ;   in Loop: Header=BB4_75 Depth=3
	v_pk_mov_b32 v[2:3], v[6:7], v[6:7] op_sel:[0,1]
	s_waitcnt lgkmcnt(0)
	v_mov_b32_e32 v5, v9
	ds_write_b64 v49, v[6:7]
	ds_write_b32 v50, v9 offset:4096
.LBB4_163:                              ;   in Loop: Header=BB4_75 Depth=3
	s_or_b64 exec, exec, s[12:13]
	ds_read_b64 v[6:7], v8 offset:256
	s_waitcnt lgkmcnt(1)
	ds_read_b32 v9, v48 offset:128
	s_waitcnt lgkmcnt(1)
	v_cmp_lt_f64_e64 s[14:15], v[2:3], v[6:7]
	v_cmp_nlt_f64_e32 vcc, v[2:3], v[6:7]
	s_and_saveexec_b64 s[42:43], vcc
	s_cbranch_execz .LBB4_165
; %bb.164:                              ;   in Loop: Header=BB4_75 Depth=3
	v_cmp_eq_f64_e32 vcc, v[2:3], v[6:7]
	s_waitcnt lgkmcnt(0)
	v_cmp_gt_i32_e64 s[12:13], v5, v9
	s_and_b64 s[12:13], vcc, s[12:13]
	s_andn2_b64 s[14:15], s[14:15], exec
	s_and_b64 s[12:13], s[12:13], exec
	s_or_b64 s[14:15], s[14:15], s[12:13]
.LBB4_165:                              ;   in Loop: Header=BB4_75 Depth=3
	s_or_b64 exec, exec, s[42:43]
	s_and_saveexec_b64 s[12:13], s[14:15]
	s_cbranch_execz .LBB4_167
; %bb.166:                              ;   in Loop: Header=BB4_75 Depth=3
	v_pk_mov_b32 v[2:3], v[6:7], v[6:7] op_sel:[0,1]
	s_waitcnt lgkmcnt(0)
	v_mov_b32_e32 v5, v9
	ds_write_b64 v49, v[6:7]
	ds_write_b32 v50, v9 offset:4096
.LBB4_167:                              ;   in Loop: Header=BB4_75 Depth=3
	s_or_b64 exec, exec, s[12:13]
	ds_read_b64 v[6:7], v8 offset:128
	s_waitcnt lgkmcnt(1)
	;; [unrolled: 28-line block ×5, first 2 shown]
	ds_read_b32 v9, v48 offset:8
	s_waitcnt lgkmcnt(1)
	v_cmp_lt_f64_e64 s[14:15], v[2:3], v[6:7]
	v_cmp_nlt_f64_e32 vcc, v[2:3], v[6:7]
	s_and_saveexec_b64 s[42:43], vcc
	s_cbranch_execz .LBB4_181
; %bb.180:                              ;   in Loop: Header=BB4_75 Depth=3
	v_cmp_eq_f64_e32 vcc, v[2:3], v[6:7]
	s_waitcnt lgkmcnt(0)
	v_cmp_gt_i32_e64 s[12:13], v5, v9
	s_and_b64 s[12:13], vcc, s[12:13]
	s_andn2_b64 s[14:15], s[14:15], exec
	s_and_b64 s[12:13], s[12:13], exec
	s_or_b64 s[14:15], s[14:15], s[12:13]
.LBB4_181:                              ;   in Loop: Header=BB4_75 Depth=3
	s_or_b64 exec, exec, s[42:43]
	s_and_saveexec_b64 s[12:13], s[14:15]
	s_cbranch_execz .LBB4_183
; %bb.182:                              ;   in Loop: Header=BB4_75 Depth=3
	v_pk_mov_b32 v[2:3], v[6:7], v[6:7] op_sel:[0,1]
	s_waitcnt lgkmcnt(0)
	v_mov_b32_e32 v5, v9
	ds_write_b64 v49, v[6:7]
	ds_write_b32 v50, v9 offset:4096
.LBB4_183:                              ;   in Loop: Header=BB4_75 Depth=3
	s_or_b64 exec, exec, s[12:13]
	ds_read_b64 v[6:7], v8 offset:8
	ds_read_b32 v8, v48 offset:4
	s_waitcnt lgkmcnt(1)
	v_cmp_eq_f64_e64 s[12:13], v[2:3], v[6:7]
	s_waitcnt lgkmcnt(0)
	v_cmp_gt_i32_e64 s[14:15], v5, v8
	v_cmp_lt_f64_e32 vcc, v[2:3], v[6:7]
	s_and_b64 s[12:13], s[12:13], s[14:15]
	s_or_b64 s[12:13], vcc, s[12:13]
	s_and_b64 exec, exec, s[12:13]
	s_cbranch_execz .LBB4_185
; %bb.184:                              ;   in Loop: Header=BB4_75 Depth=3
	ds_write_b64 v49, v[6:7]
	ds_write_b32 v50, v8 offset:4096
.LBB4_185:                              ;   in Loop: Header=BB4_75 Depth=3
	s_or_b64 exec, exec, s[22:23]
	s_waitcnt lgkmcnt(0)
	s_barrier
	ds_read_b64 v[2:3], v54
	s_waitcnt lgkmcnt(0)
	v_cmp_ge_f64_e32 vcc, v[2:3], v[26:27]
	s_cmp_lg_u64 vcc, 0
	s_addc_u32 s45, s45, 0
	s_add_i32 s14, s60, 1
	s_cmp_lt_u32 s60, 4
	s_cselect_b64 s[22:23], -1, 0
	s_cmp_lt_u32 s45, 2
	s_cselect_b64 s[12:13], -1, 0
	s_and_b64 s[22:23], s[22:23], s[12:13]
	s_and_b64 vcc, exec, s[22:23]
	s_cbranch_vccz .LBB4_187
; %bb.186:                              ;   in Loop: Header=BB4_75 Depth=3
	s_mov_b32 s60, s14
	v_bfrev_b32_e32 v5, -2
	v_pk_mov_b32 v[2:3], 0, 0
	s_and_saveexec_b64 s[22:23], s[8:9]
	s_cbranch_execnz .LBB4_72
	s_branch .LBB4_75
.LBB4_187:                              ;   in Loop: Header=BB4_27 Depth=2
	v_readlane_b32 s14, v64, 8
	v_readlane_b32 s15, v64, 9
	s_and_b64 s[14:15], s[14:15], s[12:13]
	s_and_saveexec_b64 s[12:13], s[14:15]
	s_cbranch_execz .LBB4_189
; %bb.188:                              ;   in Loop: Header=BB4_27 Depth=2
	ds_read_b32 v2, v4
	v_readlane_b32 s22, v64, 2
	v_readlane_b32 s23, v64, 3
	s_add_i32 s14, s44, 1
	v_mov_b32_e32 v5, s23
	s_waitcnt lgkmcnt(0)
	v_ashrrev_i32_e32 v3, 31, v2
	v_lshlrev_b64 v[6:7], 2, v[2:3]
	v_add_co_u32_e32 v6, vcc, s22, v6
	v_addc_co_u32_e32 v7, vcc, v5, v7, vcc
	v_mov_b32_e32 v3, s14
	v_add_u32_e32 v2, 1, v2
	flat_store_dword v[6:7], v3
	ds_write_b32 v4, v2
.LBB4_189:                              ;   in Loop: Header=BB4_27 Depth=2
	s_or_b64 exec, exec, s[12:13]
	v_bfrev_b32_e32 v8, -2
	v_pk_mov_b32 v[2:3], 0, 0
	s_and_saveexec_b64 s[22:23], s[8:9]
	v_readlane_b32 s62, v64, 37
	v_readlane_b32 s64, v64, 46
	s_mov_b32 s60, s10
	s_mov_b32 s61, s11
	v_readlane_b32 s63, v64, 38
	v_readlane_b32 s65, v64, 47
	s_cbranch_execz .LBB4_193
; %bb.190:                              ;   in Loop: Header=BB4_27 Depth=2
	s_mov_b64 s[38:39], 0
	v_bfrev_b32_e32 v8, -2
	v_pk_mov_b32 v[2:3], 0, 0
	v_pk_mov_b32 v[6:7], v[10:11], v[10:11] op_sel:[0,1]
	v_mov_b32_e32 v5, v0
.LBB4_191:                              ;   Parent Loop BB4_17 Depth=1
                                        ;     Parent Loop BB4_27 Depth=2
                                        ; =>    This Inner Loop Header: Depth=3
	global_load_dwordx2 v[36:37], v[6:7], off
	v_add_co_u32_e32 v6, vcc, 0x800, v6
	v_cmp_eq_u32_e64 s[12:13], s51, v8
	v_add_u32_e32 v9, 1, v5
	v_add_u32_e32 v5, 0x100, v5
	v_addc_co_u32_e32 v7, vcc, 0, v7, vcc
	v_cmp_lt_i32_e64 s[14:15], s86, v5
	s_waitcnt vmcnt(0)
	v_cmp_lt_f64_e64 s[42:43], v[2:3], |v[36:37]|
	v_and_b32_e32 v38, 0x7fffffff, v37
	s_or_b64 vcc, s[42:43], s[12:13]
	v_cndmask_b32_e32 v3, v3, v38, vcc
	v_cndmask_b32_e32 v2, v2, v36, vcc
	s_or_b64 s[38:39], s[14:15], s[38:39]
	v_cndmask_b32_e32 v8, v8, v9, vcc
	s_andn2_b64 exec, exec, s[38:39]
	s_cbranch_execnz .LBB4_191
; %bb.192:                              ;   in Loop: Header=BB4_27 Depth=2
	s_or_b64 exec, exec, s[38:39]
.LBB4_193:                              ;   in Loop: Header=BB4_27 Depth=2
	s_or_b64 exec, exec, s[22:23]
	v_add_u32_e32 v5, v50, v1
	ds_write_b64 v49, v[2:3]
	ds_write_b32 v50, v8 offset:4096
	s_waitcnt lgkmcnt(0)
	s_barrier
	s_and_saveexec_b64 s[14:15], s[2:3]
	s_cbranch_execz .LBB4_199
; %bb.194:                              ;   in Loop: Header=BB4_27 Depth=2
	ds_read_b64 v[6:7], v5 offset:1024
	ds_read_b32 v9, v48 offset:512
	s_waitcnt lgkmcnt(0)
	v_cmp_lt_f64_e64 s[22:23], v[2:3], v[6:7]
	v_cmp_nlt_f64_e32 vcc, v[2:3], v[6:7]
	s_and_saveexec_b64 s[38:39], vcc
; %bb.195:                              ;   in Loop: Header=BB4_27 Depth=2
	v_cmp_eq_f64_e32 vcc, v[2:3], v[6:7]
	v_cmp_gt_i32_e64 s[12:13], v8, v9
	s_and_b64 s[12:13], vcc, s[12:13]
	s_andn2_b64 s[22:23], s[22:23], exec
	s_and_b64 s[12:13], s[12:13], exec
	s_or_b64 s[22:23], s[22:23], s[12:13]
; %bb.196:                              ;   in Loop: Header=BB4_27 Depth=2
	s_or_b64 exec, exec, s[38:39]
	s_and_saveexec_b64 s[12:13], s[22:23]
	s_cbranch_execz .LBB4_198
; %bb.197:                              ;   in Loop: Header=BB4_27 Depth=2
	v_mov_b32_e32 v8, v9
	v_pk_mov_b32 v[2:3], v[6:7], v[6:7] op_sel:[0,1]
	ds_write_b64 v49, v[6:7]
	ds_write_b32 v50, v9 offset:4096
.LBB4_198:                              ;   in Loop: Header=BB4_27 Depth=2
	s_or_b64 exec, exec, s[12:13]
.LBB4_199:                              ;   in Loop: Header=BB4_27 Depth=2
	s_or_b64 exec, exec, s[14:15]
	s_waitcnt lgkmcnt(0)
	s_barrier
	s_and_saveexec_b64 s[22:23], s[4:5]
	s_cbranch_execz .LBB4_226
; %bb.200:                              ;   in Loop: Header=BB4_27 Depth=2
	ds_read_b64 v[6:7], v5 offset:512
	ds_read_b32 v9, v48 offset:256
	s_waitcnt lgkmcnt(0)
	v_cmp_lt_f64_e64 s[14:15], v[2:3], v[6:7]
	v_cmp_nlt_f64_e32 vcc, v[2:3], v[6:7]
	s_and_saveexec_b64 s[38:39], vcc
; %bb.201:                              ;   in Loop: Header=BB4_27 Depth=2
	v_cmp_eq_f64_e32 vcc, v[2:3], v[6:7]
	v_cmp_gt_i32_e64 s[12:13], v8, v9
	s_and_b64 s[12:13], vcc, s[12:13]
	s_andn2_b64 s[14:15], s[14:15], exec
	s_and_b64 s[12:13], s[12:13], exec
	s_or_b64 s[14:15], s[14:15], s[12:13]
; %bb.202:                              ;   in Loop: Header=BB4_27 Depth=2
	s_or_b64 exec, exec, s[38:39]
	s_and_saveexec_b64 s[12:13], s[14:15]
	s_cbranch_execz .LBB4_204
; %bb.203:                              ;   in Loop: Header=BB4_27 Depth=2
	v_pk_mov_b32 v[2:3], v[6:7], v[6:7] op_sel:[0,1]
	v_mov_b32_e32 v8, v9
	ds_write_b64 v49, v[6:7]
	ds_write_b32 v50, v9 offset:4096
.LBB4_204:                              ;   in Loop: Header=BB4_27 Depth=2
	s_or_b64 exec, exec, s[12:13]
	ds_read_b64 v[6:7], v5 offset:256
	ds_read_b32 v9, v48 offset:128
	s_waitcnt lgkmcnt(0)
	v_cmp_lt_f64_e64 s[14:15], v[2:3], v[6:7]
	v_cmp_nlt_f64_e32 vcc, v[2:3], v[6:7]
	s_and_saveexec_b64 s[38:39], vcc
; %bb.205:                              ;   in Loop: Header=BB4_27 Depth=2
	v_cmp_eq_f64_e32 vcc, v[2:3], v[6:7]
	v_cmp_gt_i32_e64 s[12:13], v8, v9
	s_and_b64 s[12:13], vcc, s[12:13]
	s_andn2_b64 s[14:15], s[14:15], exec
	s_and_b64 s[12:13], s[12:13], exec
	s_or_b64 s[14:15], s[14:15], s[12:13]
; %bb.206:                              ;   in Loop: Header=BB4_27 Depth=2
	s_or_b64 exec, exec, s[38:39]
	s_and_saveexec_b64 s[12:13], s[14:15]
	s_cbranch_execz .LBB4_208
; %bb.207:                              ;   in Loop: Header=BB4_27 Depth=2
	v_pk_mov_b32 v[2:3], v[6:7], v[6:7] op_sel:[0,1]
	v_mov_b32_e32 v8, v9
	ds_write_b64 v49, v[6:7]
	ds_write_b32 v50, v9 offset:4096
.LBB4_208:                              ;   in Loop: Header=BB4_27 Depth=2
	s_or_b64 exec, exec, s[12:13]
	;; [unrolled: 24-line block ×6, first 2 shown]
	ds_read_b64 v[6:7], v5 offset:8
	ds_read_b32 v9, v48 offset:4
	s_waitcnt lgkmcnt(0)
	v_cmp_eq_f64_e64 s[12:13], v[2:3], v[6:7]
	v_cmp_gt_i32_e64 s[14:15], v8, v9
	v_cmp_lt_f64_e32 vcc, v[2:3], v[6:7]
	s_and_b64 s[12:13], s[12:13], s[14:15]
	s_or_b64 s[12:13], vcc, s[12:13]
	s_and_b64 exec, exec, s[12:13]
	s_cbranch_execz .LBB4_226
; %bb.225:                              ;   in Loop: Header=BB4_27 Depth=2
	ds_write_b64 v49, v[6:7]
	ds_write_b32 v50, v9 offset:4096
.LBB4_226:                              ;   in Loop: Header=BB4_27 Depth=2
	s_or_b64 exec, exec, s[22:23]
	v_pk_mov_b32 v[2:3], 0, 0
	s_and_saveexec_b64 s[14:15], s[8:9]
	s_cbranch_execz .LBB4_230
; %bb.227:                              ;   in Loop: Header=BB4_27 Depth=2
	s_mov_b64 s[22:23], 0
	v_pk_mov_b32 v[2:3], 0, 0
	v_pk_mov_b32 v[6:7], v[10:11], v[10:11] op_sel:[0,1]
	v_mov_b32_e32 v8, v0
.LBB4_228:                              ;   Parent Loop BB4_17 Depth=1
                                        ;     Parent Loop BB4_27 Depth=2
                                        ; =>    This Inner Loop Header: Depth=3
	global_load_dwordx2 v[36:37], v[6:7], off
	v_add_u32_e32 v8, 0x100, v8
	v_add_co_u32_e32 v6, vcc, 0x800, v6
	v_cmp_lt_i32_e64 s[12:13], s86, v8
	v_addc_co_u32_e32 v7, vcc, 0, v7, vcc
	s_or_b64 s[22:23], s[12:13], s[22:23]
	s_waitcnt vmcnt(0)
	v_fmac_f64_e32 v[2:3], v[36:37], v[36:37]
	s_andn2_b64 exec, exec, s[22:23]
	s_cbranch_execnz .LBB4_228
; %bb.229:                              ;   in Loop: Header=BB4_27 Depth=2
	s_or_b64 exec, exec, s[22:23]
.LBB4_230:                              ;   in Loop: Header=BB4_27 Depth=2
	s_or_b64 exec, exec, s[14:15]
	ds_write_b64 v5, v[2:3] offset:2048
	s_waitcnt lgkmcnt(0)
	s_barrier
	s_and_saveexec_b64 s[12:13], s[2:3]
	s_cbranch_execz .LBB4_232
; %bb.231:                              ;   in Loop: Header=BB4_27 Depth=2
	ds_read_b64 v[6:7], v5 offset:3072
	s_waitcnt lgkmcnt(0)
	v_add_f64 v[2:3], v[2:3], v[6:7]
.LBB4_232:                              ;   in Loop: Header=BB4_27 Depth=2
	s_or_b64 exec, exec, s[12:13]
	s_barrier
	s_and_saveexec_b64 s[12:13], s[2:3]
	s_cbranch_execz .LBB4_234
; %bb.233:                              ;   in Loop: Header=BB4_27 Depth=2
	ds_write_b64 v5, v[2:3] offset:2048
.LBB4_234:                              ;   in Loop: Header=BB4_27 Depth=2
	s_or_b64 exec, exec, s[12:13]
	s_waitcnt lgkmcnt(0)
	s_barrier
	s_and_saveexec_b64 s[12:13], s[4:5]
	s_cbranch_execz .LBB4_236
; %bb.235:                              ;   in Loop: Header=BB4_27 Depth=2
	ds_read2st64_b64 v[6:9], v5 offset0:4 offset1:5
	v_add_u32_e32 v36, 0x800, v5
	s_waitcnt lgkmcnt(0)
	v_add_f64 v[2:3], v[6:7], v[8:9]
	ds_write_b64 v5, v[2:3] offset:2048
	s_waitcnt vmcnt(0) lgkmcnt(0)
	buffer_wbinvl1_vol
	ds_read2_b64 v[6:9], v36 offset1:32
	s_waitcnt lgkmcnt(0)
	v_add_f64 v[2:3], v[6:7], v[8:9]
	ds_write_b64 v5, v[2:3] offset:2048
	s_waitcnt lgkmcnt(0)
	buffer_wbinvl1_vol
	ds_read2_b64 v[6:9], v36 offset1:16
	s_waitcnt lgkmcnt(0)
	v_add_f64 v[2:3], v[6:7], v[8:9]
	ds_write_b64 v5, v[2:3] offset:2048
	s_waitcnt lgkmcnt(0)
	;; [unrolled: 6-line block ×6, first 2 shown]
	buffer_wbinvl1_vol
.LBB4_236:                              ;   in Loop: Header=BB4_27 Depth=2
	s_or_b64 exec, exec, s[12:13]
	s_and_saveexec_b64 s[12:13], s[0:1]
	s_cbranch_execz .LBB4_238
; %bb.237:                              ;   in Loop: Header=BB4_27 Depth=2
	ds_read_b64 v[2:3], v54 offset:2048
	s_mov_b32 s10, 0
	s_brev_b32 s11, 8
	s_waitcnt lgkmcnt(0)
	v_cmp_gt_f64_e32 vcc, s[10:11], v[2:3]
	v_cndmask_b32_e64 v5, 0, 1, vcc
	v_lshlrev_b32_e32 v5, 8, v5
	v_ldexp_f64 v[2:3], v[2:3], v5
	v_rsq_f64_e32 v[6:7], v[2:3]
	s_and_b64 s[14:15], vcc, exec
	s_cselect_b32 s14, 0xffffff80, 0
	v_cmp_class_f64_e32 vcc, v[2:3], v51
	v_mul_f64 v[8:9], v[2:3], v[6:7]
	v_mul_f64 v[6:7], v[6:7], 0.5
	v_fma_f64 v[36:37], -v[6:7], v[8:9], 0.5
	v_fmac_f64_e32 v[8:9], v[8:9], v[36:37]
	v_fmac_f64_e32 v[6:7], v[6:7], v[36:37]
	v_fma_f64 v[36:37], -v[8:9], v[8:9], v[2:3]
	v_fmac_f64_e32 v[8:9], v[36:37], v[6:7]
	v_fma_f64 v[36:37], -v[8:9], v[8:9], v[2:3]
	v_fmac_f64_e32 v[8:9], v[36:37], v[6:7]
	v_ldexp_f64 v[6:7], v[8:9], s14
	v_cndmask_b32_e32 v3, v7, v3, vcc
	v_cndmask_b32_e32 v2, v6, v2, vcc
	ds_write_b64 v54, v[2:3] offset:2048
.LBB4_238:                              ;   in Loop: Header=BB4_27 Depth=2
	s_or_b64 exec, exec, s[12:13]
	s_waitcnt lgkmcnt(0)
	s_barrier
	ds_read_b32 v6, v54 offset:4096
	ds_read_b64 v[2:3], v54 offset:2048
	v_readlane_b32 s10, v64, 15
	v_mov_b32_e32 v5, s10
	v_readlane_b32 s10, v64, 14
	s_waitcnt lgkmcnt(0)
	v_ashrrev_i32_e32 v7, 31, v6
	v_lshlrev_b64 v[6:7], 3, v[6:7]
	v_add_co_u32_e32 v6, vcc, s10, v6
	v_addc_co_u32_e32 v7, vcc, v5, v7, vcc
	global_load_dwordx2 v[6:7], v[6:7], off
	s_barrier
	s_and_saveexec_b64 s[12:13], s[8:9]
	s_cbranch_execz .LBB4_241
; %bb.239:                              ;   in Loop: Header=BB4_27 Depth=2
	s_waitcnt vmcnt(0)
	v_cmp_nle_f64_e32 vcc, 0, v[6:7]
	s_and_b64 s[14:15], vcc, exec
	s_mov_b32 s10, 0xbff00000
	s_cselect_b32 s15, s10, 0x3ff00000
	s_mov_b32 s14, s17
	v_div_scale_f64 v[6:7], s[22:23], v[2:3], v[2:3], s[14:15]
	v_rcp_f64_e32 v[8:9], v[6:7]
	v_mov_b32_e32 v5, v0
	v_fma_f64 v[36:37], -v[6:7], v[8:9], 1.0
	v_fmac_f64_e32 v[8:9], v[8:9], v[36:37]
	v_fma_f64 v[36:37], -v[6:7], v[8:9], 1.0
	v_fmac_f64_e32 v[8:9], v[8:9], v[36:37]
	v_div_scale_f64 v[36:37], vcc, s[14:15], v[2:3], s[14:15]
	v_mul_f64 v[38:39], v[36:37], v[8:9]
	v_fma_f64 v[6:7], -v[6:7], v[38:39], v[36:37]
	s_nop 1
	v_div_fmas_f64 v[6:7], v[6:7], v[8:9], v[38:39]
	v_div_fixup_f64 v[2:3], v[6:7], v[2:3], s[14:15]
	s_mov_b64 s[14:15], 0
	v_pk_mov_b32 v[6:7], v[10:11], v[10:11] op_sel:[0,1]
.LBB4_240:                              ;   Parent Loop BB4_17 Depth=1
                                        ;     Parent Loop BB4_27 Depth=2
                                        ; =>    This Inner Loop Header: Depth=3
	global_load_dwordx2 v[8:9], v[6:7], off
	v_add_u32_e32 v5, 0x100, v5
	v_cmp_lt_i32_e32 vcc, s86, v5
	s_or_b64 s[14:15], vcc, s[14:15]
	s_waitcnt vmcnt(0)
	v_mul_f64 v[8:9], v[2:3], v[8:9]
	global_store_dwordx2 v[6:7], v[8:9], off
	v_add_co_u32_e32 v6, vcc, 0x800, v6
	v_addc_co_u32_e32 v7, vcc, 0, v7, vcc
	s_andn2_b64 exec, exec, s[14:15]
	s_cbranch_execnz .LBB4_240
.LBB4_241:                              ;   in Loop: Header=BB4_27 Depth=2
	s_or_b64 exec, exec, s[12:13]
	s_barrier
.LBB4_242:                              ;   in Loop: Header=BB4_27 Depth=2
	s_and_saveexec_b64 s[14:15], s[62:63]
	s_cbranch_execz .LBB4_26
; %bb.243:                              ;   in Loop: Header=BB4_27 Depth=2
	s_mov_b64 s[22:23], 0
	s_waitcnt vmcnt(0)
	v_pk_mov_b32 v[6:7], v[34:35], v[34:35] op_sel:[0,1]
	v_mov_b32_e32 v8, v0
	s_branch .LBB4_245
.LBB4_244:                              ;   in Loop: Header=BB4_245 Depth=3
	s_or_b64 exec, exec, s[12:13]
	v_add_u32_e32 v36, s83, v8
	v_ashrrev_i32_e32 v37, 31, v36
	v_lshlrev_b64 v[36:37], 4, v[36:37]
	v_mov_b32_e32 v5, s56
	v_add_co_u32_e32 v36, vcc, s52, v36
	v_addc_co_u32_e32 v37, vcc, v5, v37, vcc
	v_add_u32_e32 v8, 0x100, v8
	v_add_co_u32_e32 v6, vcc, 0x800, v6
	v_cmp_le_i32_e64 s[12:13], s50, v8
	v_mov_b32_e32 v5, v4
	s_or_b64 s[22:23], s[12:13], s[22:23]
	v_addc_co_u32_e32 v7, vcc, 0, v7, vcc
	s_waitcnt vmcnt(0)
	global_store_dwordx4 v[36:37], v[2:5], off
	s_andn2_b64 exec, exec, s[22:23]
	s_cbranch_execz .LBB4_26
.LBB4_245:                              ;   Parent Loop BB4_17 Depth=1
                                        ;     Parent Loop BB4_27 Depth=2
                                        ; =>    This Inner Loop Header: Depth=3
	v_cmp_le_i32_e32 vcc, s82, v8
	v_cmp_gt_i32_e64 s[12:13], s84, v8
	s_and_b64 s[38:39], vcc, s[12:13]
	v_pk_mov_b32 v[2:3], 0, 0
	s_and_saveexec_b64 s[12:13], s[38:39]
	s_cbranch_execz .LBB4_244
; %bb.246:                              ;   in Loop: Header=BB4_245 Depth=3
	global_load_dwordx2 v[2:3], v[6:7], off
	s_branch .LBB4_244
.LBB4_247:
	s_and_saveexec_b64 s[2:3], s[0:1]
	s_cbranch_execz .LBB4_249
; %bb.248:
	v_mov_b32_e32 v0, 0
	ds_read_b32 v1, v0
	v_readlane_b32 s0, v64, 0
	v_readlane_b32 s1, v64, 1
	s_add_u32 s0, s18, s0
	s_addc_u32 s1, s19, s1
	s_waitcnt lgkmcnt(0)
	s_nop 1
	global_store_dword v0, v1, s[0:1]
.LBB4_249:
	s_endpgm
	.section	.rodata,"a",@progbits
	.p2align	6, 0x0
	.amdhsa_kernel _ZN9rocsolver6v33100L12stein_kernelI19rocblas_complex_numIdEdPS3_EEviPT0_lS6_lPiS6_lS7_lS7_lT1_iilS7_lS7_S6_S7_S5_S5_
		.amdhsa_group_segment_fixed_size 8
		.amdhsa_private_segment_fixed_size 0
		.amdhsa_kernarg_size 176
		.amdhsa_user_sgpr_count 6
		.amdhsa_user_sgpr_private_segment_buffer 1
		.amdhsa_user_sgpr_dispatch_ptr 0
		.amdhsa_user_sgpr_queue_ptr 0
		.amdhsa_user_sgpr_kernarg_segment_ptr 1
		.amdhsa_user_sgpr_dispatch_id 0
		.amdhsa_user_sgpr_flat_scratch_init 0
		.amdhsa_user_sgpr_kernarg_preload_length 0
		.amdhsa_user_sgpr_kernarg_preload_offset 0
		.amdhsa_user_sgpr_private_segment_size 0
		.amdhsa_uses_dynamic_stack 0
		.amdhsa_system_sgpr_private_segment_wavefront_offset 0
		.amdhsa_system_sgpr_workgroup_id_x 1
		.amdhsa_system_sgpr_workgroup_id_y 1
		.amdhsa_system_sgpr_workgroup_id_z 0
		.amdhsa_system_sgpr_workgroup_info 0
		.amdhsa_system_vgpr_workitem_id 0
		.amdhsa_next_free_vgpr 65
		.amdhsa_next_free_sgpr 96
		.amdhsa_accum_offset 68
		.amdhsa_reserve_vcc 1
		.amdhsa_reserve_flat_scratch 0
		.amdhsa_float_round_mode_32 0
		.amdhsa_float_round_mode_16_64 0
		.amdhsa_float_denorm_mode_32 3
		.amdhsa_float_denorm_mode_16_64 3
		.amdhsa_dx10_clamp 1
		.amdhsa_ieee_mode 1
		.amdhsa_fp16_overflow 0
		.amdhsa_tg_split 0
		.amdhsa_exception_fp_ieee_invalid_op 0
		.amdhsa_exception_fp_denorm_src 0
		.amdhsa_exception_fp_ieee_div_zero 0
		.amdhsa_exception_fp_ieee_overflow 0
		.amdhsa_exception_fp_ieee_underflow 0
		.amdhsa_exception_fp_ieee_inexact 0
		.amdhsa_exception_int_div_zero 0
	.end_amdhsa_kernel
	.section	.text._ZN9rocsolver6v33100L12stein_kernelI19rocblas_complex_numIdEdPS3_EEviPT0_lS6_lPiS6_lS7_lS7_lT1_iilS7_lS7_S6_S7_S5_S5_,"axG",@progbits,_ZN9rocsolver6v33100L12stein_kernelI19rocblas_complex_numIdEdPS3_EEviPT0_lS6_lPiS6_lS7_lS7_lT1_iilS7_lS7_S6_S7_S5_S5_,comdat
.Lfunc_end4:
	.size	_ZN9rocsolver6v33100L12stein_kernelI19rocblas_complex_numIdEdPS3_EEviPT0_lS6_lPiS6_lS7_lS7_lT1_iilS7_lS7_S6_S7_S5_S5_, .Lfunc_end4-_ZN9rocsolver6v33100L12stein_kernelI19rocblas_complex_numIdEdPS3_EEviPT0_lS6_lPiS6_lS7_lS7_lT1_iilS7_lS7_S6_S7_S5_S5_
                                        ; -- End function
	.section	.AMDGPU.csdata,"",@progbits
; Kernel info:
; codeLenInByte = 11264
; NumSgprs: 100
; NumVgprs: 65
; NumAgprs: 0
; TotalNumVgprs: 65
; ScratchSize: 0
; MemoryBound: 1
; FloatMode: 240
; IeeeMode: 1
; LDSByteSize: 8 bytes/workgroup (compile time only)
; SGPRBlocks: 12
; VGPRBlocks: 8
; NumSGPRsForWavesPerEU: 100
; NumVGPRsForWavesPerEU: 65
; AccumOffset: 68
; Occupancy: 7
; WaveLimiterHint : 1
; COMPUTE_PGM_RSRC2:SCRATCH_EN: 0
; COMPUTE_PGM_RSRC2:USER_SGPR: 6
; COMPUTE_PGM_RSRC2:TRAP_HANDLER: 0
; COMPUTE_PGM_RSRC2:TGID_X_EN: 1
; COMPUTE_PGM_RSRC2:TGID_Y_EN: 1
; COMPUTE_PGM_RSRC2:TGID_Z_EN: 0
; COMPUTE_PGM_RSRC2:TIDIG_COMP_CNT: 0
; COMPUTE_PGM_RSRC3_GFX90A:ACCUM_OFFSET: 16
; COMPUTE_PGM_RSRC3_GFX90A:TG_SPLIT: 0
	.text
	.p2alignl 6, 3212836864
	.fill 256, 4, 3212836864
	.type	__hip_cuid_4736d982ce76888b,@object ; @__hip_cuid_4736d982ce76888b
	.section	.bss,"aw",@nobits
	.globl	__hip_cuid_4736d982ce76888b
__hip_cuid_4736d982ce76888b:
	.byte	0                               ; 0x0
	.size	__hip_cuid_4736d982ce76888b, 1

	.ident	"AMD clang version 19.0.0git (https://github.com/RadeonOpenCompute/llvm-project roc-6.4.0 25133 c7fe45cf4b819c5991fe208aaa96edf142730f1d)"
	.section	".note.GNU-stack","",@progbits
	.addrsig
	.addrsig_sym __hip_cuid_4736d982ce76888b
	.amdgpu_metadata
---
amdhsa.kernels:
  - .agpr_count:     0
    .args:
      - .address_space:  global
        .offset:         0
        .size:           8
        .value_kind:     global_buffer
      - .offset:         8
        .size:           4
        .value_kind:     by_value
      - .offset:         12
        .size:           4
        .value_kind:     by_value
      - .offset:         16
        .size:           4
        .value_kind:     by_value
      - .offset:         24
        .size:           4
        .value_kind:     hidden_block_count_x
      - .offset:         28
        .size:           4
        .value_kind:     hidden_block_count_y
      - .offset:         32
        .size:           4
        .value_kind:     hidden_block_count_z
      - .offset:         36
        .size:           2
        .value_kind:     hidden_group_size_x
      - .offset:         38
        .size:           2
        .value_kind:     hidden_group_size_y
      - .offset:         40
        .size:           2
        .value_kind:     hidden_group_size_z
      - .offset:         42
        .size:           2
        .value_kind:     hidden_remainder_x
      - .offset:         44
        .size:           2
        .value_kind:     hidden_remainder_y
      - .offset:         46
        .size:           2
        .value_kind:     hidden_remainder_z
      - .offset:         64
        .size:           8
        .value_kind:     hidden_global_offset_x
      - .offset:         72
        .size:           8
        .value_kind:     hidden_global_offset_y
      - .offset:         80
        .size:           8
        .value_kind:     hidden_global_offset_z
      - .offset:         88
        .size:           2
        .value_kind:     hidden_grid_dims
    .group_segment_fixed_size: 0
    .kernarg_segment_align: 8
    .kernarg_segment_size: 280
    .language:       OpenCL C
    .language_version:
      - 2
      - 0
    .max_flat_workgroup_size: 1024
    .name:           _ZN9rocsolver6v33100L10reset_infoIiiiEEvPT_T0_T1_S4_
    .private_segment_fixed_size: 0
    .sgpr_count:     12
    .sgpr_spill_count: 0
    .symbol:         _ZN9rocsolver6v33100L10reset_infoIiiiEEvPT_T0_T1_S4_.kd
    .uniform_work_group_size: 1
    .uses_dynamic_stack: false
    .vgpr_count:     4
    .vgpr_spill_count: 0
    .wavefront_size: 64
  - .agpr_count:     0
    .args:
      - .offset:         0
        .size:           4
        .value_kind:     by_value
      - .address_space:  global
        .offset:         8
        .size:           8
        .value_kind:     global_buffer
      - .offset:         16
        .size:           8
        .value_kind:     by_value
      - .address_space:  global
        .offset:         24
        .size:           8
        .value_kind:     global_buffer
      - .offset:         32
        .size:           8
        .value_kind:     by_value
      - .address_space:  global
        .offset:         40
        .size:           8
        .value_kind:     global_buffer
      - .address_space:  global
        .offset:         48
        .size:           8
        .value_kind:     global_buffer
      - .offset:         56
        .size:           8
        .value_kind:     by_value
      - .address_space:  global
        .offset:         64
        .size:           8
        .value_kind:     global_buffer
      - .offset:         72
        .size:           8
        .value_kind:     by_value
      - .address_space:  global
        .offset:         80
        .size:           8
        .value_kind:     global_buffer
      - .offset:         88
        .size:           8
        .value_kind:     by_value
      - .address_space:  global
        .offset:         96
        .size:           8
        .value_kind:     global_buffer
      - .offset:         104
        .size:           4
        .value_kind:     by_value
      - .offset:         108
        .size:           4
        .value_kind:     by_value
      - .offset:         112
        .size:           8
        .value_kind:     by_value
      - .address_space:  global
        .offset:         120
        .size:           8
        .value_kind:     global_buffer
      - .offset:         128
        .size:           8
        .value_kind:     by_value
      - .address_space:  global
        .offset:         136
        .size:           8
        .value_kind:     global_buffer
      - .address_space:  global
        .offset:         144
        .size:           8
        .value_kind:     global_buffer
      - .address_space:  global
        .offset:         152
        .size:           8
        .value_kind:     global_buffer
      - .offset:         160
        .size:           4
        .value_kind:     by_value
      - .offset:         164
        .size:           4
        .value_kind:     by_value
    .group_segment_fixed_size: 8
    .kernarg_segment_align: 8
    .kernarg_segment_size: 168
    .language:       OpenCL C
    .language_version:
      - 2
      - 0
    .max_flat_workgroup_size: 256
    .name:           _ZN9rocsolver6v33100L12stein_kernelIffPfEEviPT0_lS4_lPiS4_lS5_lS5_lT1_iilS5_lS5_S4_S5_S3_S3_
    .private_segment_fixed_size: 0
    .sgpr_count:     100
    .sgpr_spill_count: 40
    .symbol:         _ZN9rocsolver6v33100L12stein_kernelIffPfEEviPT0_lS4_lPiS4_lS5_lS5_lT1_iilS5_lS5_S4_S5_S3_S3_.kd
    .uniform_work_group_size: 1
    .uses_dynamic_stack: false
    .vgpr_count:     53
    .vgpr_spill_count: 0
    .wavefront_size: 64
  - .agpr_count:     0
    .args:
      - .offset:         0
        .size:           4
        .value_kind:     by_value
      - .address_space:  global
        .offset:         8
        .size:           8
        .value_kind:     global_buffer
      - .offset:         16
        .size:           8
        .value_kind:     by_value
      - .address_space:  global
        .offset:         24
        .size:           8
        .value_kind:     global_buffer
      - .offset:         32
        .size:           8
        .value_kind:     by_value
      - .address_space:  global
        .offset:         40
        .size:           8
        .value_kind:     global_buffer
      - .address_space:  global
        .offset:         48
        .size:           8
        .value_kind:     global_buffer
      - .offset:         56
        .size:           8
        .value_kind:     by_value
      - .address_space:  global
        .offset:         64
        .size:           8
        .value_kind:     global_buffer
      - .offset:         72
        .size:           8
        .value_kind:     by_value
      - .address_space:  global
        .offset:         80
        .size:           8
        .value_kind:     global_buffer
      - .offset:         88
        .size:           8
        .value_kind:     by_value
      - .address_space:  global
        .offset:         96
        .size:           8
        .value_kind:     global_buffer
      - .offset:         104
        .size:           4
        .value_kind:     by_value
      - .offset:         108
        .size:           4
        .value_kind:     by_value
      - .offset:         112
        .size:           8
        .value_kind:     by_value
      - .address_space:  global
        .offset:         120
        .size:           8
        .value_kind:     global_buffer
      - .offset:         128
        .size:           8
        .value_kind:     by_value
      - .address_space:  global
        .offset:         136
        .size:           8
        .value_kind:     global_buffer
      - .address_space:  global
        .offset:         144
        .size:           8
        .value_kind:     global_buffer
      - .address_space:  global
        .offset:         152
        .size:           8
        .value_kind:     global_buffer
      - .offset:         160
        .size:           8
        .value_kind:     by_value
      - .offset:         168
        .size:           8
        .value_kind:     by_value
    .group_segment_fixed_size: 8
    .kernarg_segment_align: 8
    .kernarg_segment_size: 176
    .language:       OpenCL C
    .language_version:
      - 2
      - 0
    .max_flat_workgroup_size: 256
    .name:           _ZN9rocsolver6v33100L12stein_kernelIddPdEEviPT0_lS4_lPiS4_lS5_lS5_lT1_iilS5_lS5_S4_S5_S3_S3_
    .private_segment_fixed_size: 0
    .sgpr_count:     100
    .sgpr_spill_count: 48
    .symbol:         _ZN9rocsolver6v33100L12stein_kernelIddPdEEviPT0_lS4_lPiS4_lS5_lS5_lT1_iilS5_lS5_S4_S5_S3_S3_.kd
    .uniform_work_group_size: 1
    .uses_dynamic_stack: false
    .vgpr_count:     65
    .vgpr_spill_count: 0
    .wavefront_size: 64
  - .agpr_count:     0
    .args:
      - .offset:         0
        .size:           4
        .value_kind:     by_value
      - .address_space:  global
        .offset:         8
        .size:           8
        .value_kind:     global_buffer
      - .offset:         16
        .size:           8
        .value_kind:     by_value
      - .address_space:  global
        .offset:         24
        .size:           8
        .value_kind:     global_buffer
      - .offset:         32
        .size:           8
        .value_kind:     by_value
      - .address_space:  global
        .offset:         40
        .size:           8
        .value_kind:     global_buffer
      - .address_space:  global
        .offset:         48
        .size:           8
        .value_kind:     global_buffer
      - .offset:         56
        .size:           8
        .value_kind:     by_value
      - .address_space:  global
        .offset:         64
        .size:           8
        .value_kind:     global_buffer
      - .offset:         72
        .size:           8
        .value_kind:     by_value
      - .address_space:  global
        .offset:         80
        .size:           8
        .value_kind:     global_buffer
      - .offset:         88
        .size:           8
        .value_kind:     by_value
      - .address_space:  global
        .offset:         96
        .size:           8
        .value_kind:     global_buffer
      - .offset:         104
        .size:           4
        .value_kind:     by_value
      - .offset:         108
        .size:           4
        .value_kind:     by_value
      - .offset:         112
        .size:           8
        .value_kind:     by_value
      - .address_space:  global
        .offset:         120
        .size:           8
        .value_kind:     global_buffer
      - .offset:         128
        .size:           8
        .value_kind:     by_value
      - .address_space:  global
        .offset:         136
        .size:           8
        .value_kind:     global_buffer
      - .address_space:  global
        .offset:         144
        .size:           8
        .value_kind:     global_buffer
      - .address_space:  global
        .offset:         152
        .size:           8
        .value_kind:     global_buffer
      - .offset:         160
        .size:           4
        .value_kind:     by_value
      - .offset:         164
        .size:           4
        .value_kind:     by_value
    .group_segment_fixed_size: 8
    .kernarg_segment_align: 8
    .kernarg_segment_size: 168
    .language:       OpenCL C
    .language_version:
      - 2
      - 0
    .max_flat_workgroup_size: 256
    .name:           _ZN9rocsolver6v33100L12stein_kernelI19rocblas_complex_numIfEfPS3_EEviPT0_lS6_lPiS6_lS7_lS7_lT1_iilS7_lS7_S6_S7_S5_S5_
    .private_segment_fixed_size: 0
    .sgpr_count:     100
    .sgpr_spill_count: 40
    .symbol:         _ZN9rocsolver6v33100L12stein_kernelI19rocblas_complex_numIfEfPS3_EEviPT0_lS6_lPiS6_lS7_lS7_lT1_iilS7_lS7_S6_S7_S5_S5_.kd
    .uniform_work_group_size: 1
    .uses_dynamic_stack: false
    .vgpr_count:     53
    .vgpr_spill_count: 0
    .wavefront_size: 64
  - .agpr_count:     0
    .args:
      - .offset:         0
        .size:           4
        .value_kind:     by_value
      - .address_space:  global
        .offset:         8
        .size:           8
        .value_kind:     global_buffer
      - .offset:         16
        .size:           8
        .value_kind:     by_value
      - .address_space:  global
        .offset:         24
        .size:           8
        .value_kind:     global_buffer
      - .offset:         32
        .size:           8
        .value_kind:     by_value
      - .address_space:  global
        .offset:         40
        .size:           8
        .value_kind:     global_buffer
      - .address_space:  global
        .offset:         48
        .size:           8
        .value_kind:     global_buffer
      - .offset:         56
        .size:           8
        .value_kind:     by_value
      - .address_space:  global
        .offset:         64
        .size:           8
        .value_kind:     global_buffer
      - .offset:         72
        .size:           8
        .value_kind:     by_value
      - .address_space:  global
        .offset:         80
        .size:           8
        .value_kind:     global_buffer
      - .offset:         88
        .size:           8
        .value_kind:     by_value
      - .address_space:  global
        .offset:         96
        .size:           8
        .value_kind:     global_buffer
      - .offset:         104
        .size:           4
        .value_kind:     by_value
      - .offset:         108
        .size:           4
        .value_kind:     by_value
      - .offset:         112
        .size:           8
        .value_kind:     by_value
      - .address_space:  global
        .offset:         120
        .size:           8
        .value_kind:     global_buffer
      - .offset:         128
        .size:           8
        .value_kind:     by_value
      - .address_space:  global
        .offset:         136
        .size:           8
        .value_kind:     global_buffer
      - .address_space:  global
        .offset:         144
        .size:           8
        .value_kind:     global_buffer
      - .address_space:  global
        .offset:         152
        .size:           8
        .value_kind:     global_buffer
      - .offset:         160
        .size:           8
        .value_kind:     by_value
      - .offset:         168
        .size:           8
        .value_kind:     by_value
    .group_segment_fixed_size: 8
    .kernarg_segment_align: 8
    .kernarg_segment_size: 176
    .language:       OpenCL C
    .language_version:
      - 2
      - 0
    .max_flat_workgroup_size: 256
    .name:           _ZN9rocsolver6v33100L12stein_kernelI19rocblas_complex_numIdEdPS3_EEviPT0_lS6_lPiS6_lS7_lS7_lT1_iilS7_lS7_S6_S7_S5_S5_
    .private_segment_fixed_size: 0
    .sgpr_count:     100
    .sgpr_spill_count: 48
    .symbol:         _ZN9rocsolver6v33100L12stein_kernelI19rocblas_complex_numIdEdPS3_EEviPT0_lS6_lPiS6_lS7_lS7_lT1_iilS7_lS7_S6_S7_S5_S5_.kd
    .uniform_work_group_size: 1
    .uses_dynamic_stack: false
    .vgpr_count:     65
    .vgpr_spill_count: 0
    .wavefront_size: 64
amdhsa.target:   amdgcn-amd-amdhsa--gfx90a
amdhsa.version:
  - 1
  - 2
...

	.end_amdgpu_metadata
